;; amdgpu-corpus repo=ROCm/rocFFT kind=compiled arch=gfx1201 opt=O3
	.text
	.amdgcn_target "amdgcn-amd-amdhsa--gfx1201"
	.amdhsa_code_object_version 6
	.protected	bluestein_single_back_len585_dim1_sp_op_CI_CI ; -- Begin function bluestein_single_back_len585_dim1_sp_op_CI_CI
	.globl	bluestein_single_back_len585_dim1_sp_op_CI_CI
	.p2align	8
	.type	bluestein_single_back_len585_dim1_sp_op_CI_CI,@function
bluestein_single_back_len585_dim1_sp_op_CI_CI: ; @bluestein_single_back_len585_dim1_sp_op_CI_CI
; %bb.0:
	s_load_b128 s[8:11], s[0:1], 0x28
	v_mul_u32_u24_e32 v1, 0x3f1, v0
	s_mov_b32 s2, exec_lo
	s_delay_alu instid0(VALU_DEP_1) | instskip(NEXT) | instid1(VALU_DEP_1)
	v_lshrrev_b32_e32 v1, 16, v1
	v_mad_co_u64_u32 v[64:65], null, ttmp9, 3, v[1:2]
	v_mov_b32_e32 v65, 0
	s_wait_kmcnt 0x0
	s_delay_alu instid0(VALU_DEP_1)
	v_cmpx_gt_u64_e64 s[8:9], v[64:65]
	s_cbranch_execz .LBB0_23
; %bb.1:
	v_mul_hi_u32 v2, 0xaaaaaaab, v64
	s_clause 0x1
	s_load_b64 s[8:9], s[0:1], 0x0
	s_load_b64 s[12:13], s[0:1], 0x38
	v_mul_lo_u16 v1, 0x41, v1
	s_delay_alu instid0(VALU_DEP_1) | instskip(NEXT) | instid1(VALU_DEP_3)
	v_sub_nc_u16 v0, v0, v1
	v_lshrrev_b32_e32 v2, 1, v2
	s_delay_alu instid0(VALU_DEP_2) | instskip(NEXT) | instid1(VALU_DEP_2)
	v_and_b32_e32 v70, 0xffff, v0
	v_lshl_add_u32 v2, v2, 1, v2
	v_cmp_gt_u16_e32 vcc_lo, 45, v0
	s_delay_alu instid0(VALU_DEP_3) | instskip(NEXT) | instid1(VALU_DEP_3)
	v_lshlrev_b32_e32 v69, 3, v70
	v_sub_nc_u32_e32 v1, v64, v2
	s_delay_alu instid0(VALU_DEP_1) | instskip(NEXT) | instid1(VALU_DEP_1)
	v_mul_u32_u24_e32 v42, 0x249, v1
	v_lshlrev_b32_e32 v71, 3, v42
	s_and_saveexec_b32 s3, vcc_lo
	s_cbranch_execz .LBB0_3
; %bb.2:
	s_load_b64 s[4:5], s[0:1], 0x18
	s_delay_alu instid0(VALU_DEP_1)
	v_lshl_add_u32 v56, v70, 3, v71
	s_wait_kmcnt 0x0
	s_load_b128 s[4:7], s[4:5], 0x0
	s_wait_kmcnt 0x0
	v_mad_co_u64_u32 v[0:1], null, s6, v64, 0
	v_mad_co_u64_u32 v[2:3], null, s4, v70, 0
	s_delay_alu instid0(VALU_DEP_1) | instskip(NEXT) | instid1(VALU_DEP_1)
	v_mad_co_u64_u32 v[4:5], null, s7, v64, v[1:2]
	v_mad_co_u64_u32 v[5:6], null, s5, v70, v[3:4]
	v_mov_b32_e32 v1, v4
	s_mul_u64 s[4:5], s[4:5], 0x168
	s_delay_alu instid0(VALU_DEP_1) | instskip(NEXT) | instid1(VALU_DEP_3)
	v_lshlrev_b64_e32 v[0:1], 3, v[0:1]
	v_mov_b32_e32 v3, v5
	s_delay_alu instid0(VALU_DEP_2) | instskip(NEXT) | instid1(VALU_DEP_2)
	v_add_co_u32 v10, s2, s10, v0
	v_lshlrev_b64_e32 v[2:3], 3, v[2:3]
	s_delay_alu instid0(VALU_DEP_4)
	v_add_co_ci_u32_e64 v11, s2, s11, v1, s2
	s_clause 0xa
	global_load_b64 v[0:1], v69, s[8:9]
	global_load_b64 v[4:5], v69, s[8:9] offset:360
	global_load_b64 v[6:7], v69, s[8:9] offset:720
	;; [unrolled: 1-line block ×10, first 2 shown]
	v_add_co_u32 v2, s2, v10, v2
	s_wait_alu 0xf1ff
	v_add_co_ci_u32_e64 v3, s2, v11, v3, s2
	s_wait_alu 0xfffe
	s_delay_alu instid0(VALU_DEP_2) | instskip(SKIP_1) | instid1(VALU_DEP_2)
	v_add_co_u32 v10, s2, v2, s4
	s_wait_alu 0xf1ff
	v_add_co_ci_u32_e64 v11, s2, s5, v3, s2
	global_load_b64 v[2:3], v[2:3], off
	v_add_co_u32 v20, s2, v10, s4
	s_wait_alu 0xf1ff
	v_add_co_ci_u32_e64 v21, s2, s5, v11, s2
	s_delay_alu instid0(VALU_DEP_2) | instskip(SKIP_1) | instid1(VALU_DEP_2)
	v_add_co_u32 v28, s2, v20, s4
	s_wait_alu 0xf1ff
	v_add_co_ci_u32_e64 v29, s2, s5, v21, s2
	s_delay_alu instid0(VALU_DEP_2) | instskip(SKIP_1) | instid1(VALU_DEP_2)
	v_add_co_u32 v30, s2, v28, s4
	s_wait_alu 0xf1ff
	v_add_co_ci_u32_e64 v31, s2, s5, v29, s2
	s_clause 0x2
	global_load_b64 v[10:11], v[10:11], off
	global_load_b64 v[20:21], v[20:21], off
	;; [unrolled: 1-line block ×3, first 2 shown]
	v_add_co_u32 v32, s2, v30, s4
	s_wait_alu 0xf1ff
	v_add_co_ci_u32_e64 v33, s2, s5, v31, s2
	global_load_b64 v[30:31], v[30:31], off
	v_add_co_u32 v34, s2, v32, s4
	s_wait_alu 0xf1ff
	v_add_co_ci_u32_e64 v35, s2, s5, v33, s2
	global_load_b64 v[32:33], v[32:33], off
	;; [unrolled: 4-line block ×7, first 2 shown]
	v_add_co_u32 v47, s2, v45, s4
	s_wait_alu 0xf1ff
	v_add_co_ci_u32_e64 v48, s2, s5, v46, s2
	global_load_b64 v[49:50], v69, s[8:9] offset:3960
	global_load_b64 v[45:46], v[45:46], off
	global_load_b64 v[51:52], v69, s[8:9] offset:4320
	global_load_b64 v[47:48], v[47:48], off
	s_wait_loadcnt 0xe
	v_mul_f32_e32 v54, v2, v1
	v_mul_f32_e32 v53, v3, v1
	s_delay_alu instid0(VALU_DEP_2) | instskip(NEXT) | instid1(VALU_DEP_2)
	v_fma_f32 v54, v3, v0, -v54
	v_fmac_f32_e32 v53, v2, v0
	s_wait_loadcnt 0xd
	v_mul_f32_e32 v1, v11, v5
	s_wait_loadcnt 0xc
	v_dual_mul_f32 v2, v10, v5 :: v_dual_mul_f32 v5, v21, v7
	s_wait_loadcnt 0xb
	v_dual_mul_f32 v7, v20, v7 :: v_dual_mul_f32 v0, v29, v9
	v_add_nc_u32_e32 v55, v71, v69
	v_fmac_f32_e32 v1, v10, v4
	v_fma_f32 v2, v11, v4, -v2
	v_fmac_f32_e32 v5, v20, v6
	v_fma_f32 v6, v21, v6, -v7
	ds_store_b64 v56, v[53:54]
	v_fmac_f32_e32 v0, v28, v8
	s_wait_loadcnt 0x9
	v_mul_f32_e32 v4, v33, v15
	v_add_nc_u32_e32 v57, 0x400, v55
	v_add_nc_u32_e32 v20, 0x800, v55
	s_delay_alu instid0(VALU_DEP_3)
	v_dual_fmac_f32 v4, v32, v14 :: v_dual_add_nc_u32 v21, 0xc00, v55
	ds_store_2addr_b64 v55, v[1:2], v[5:6] offset0:45 offset1:90
	v_mul_f32_e32 v2, v31, v13
	s_wait_loadcnt 0x8
	v_mul_f32_e32 v6, v35, v17
	v_mul_f32_e32 v3, v28, v9
	;; [unrolled: 1-line block ×3, first 2 shown]
	v_fmac_f32_e32 v2, v30, v12
	s_delay_alu instid0(VALU_DEP_4) | instskip(NEXT) | instid1(VALU_DEP_4)
	v_fmac_f32_e32 v6, v34, v16
	v_fma_f32 v1, v29, v8, -v3
	s_wait_loadcnt 0x6
	v_mul_f32_e32 v10, v39, v23
	v_dual_mul_f32 v8, v37, v19 :: v_dual_mul_f32 v5, v30, v13
	v_mul_f32_e32 v9, v36, v19
	v_fma_f32 v7, v35, v16, -v7
	s_delay_alu instid0(VALU_DEP_4) | instskip(NEXT) | instid1(VALU_DEP_4)
	v_fmac_f32_e32 v10, v38, v22
	v_fmac_f32_e32 v8, v36, v18
	v_fma_f32 v3, v31, v12, -v5
	s_wait_loadcnt 0x5
	v_dual_mul_f32 v5, v32, v15 :: v_dual_mul_f32 v12, v41, v25
	v_mul_f32_e32 v11, v38, v23
	s_wait_loadcnt 0x4
	v_mul_f32_e32 v15, v43, v27
	v_fma_f32 v9, v37, v18, -v9
	s_wait_loadcnt 0x2
	v_mul_f32_e32 v16, v46, v50
	v_fma_f32 v5, v33, v14, -v5
	v_dual_mul_f32 v14, v44, v27 :: v_dual_mul_f32 v17, v45, v50
	v_mul_f32_e32 v13, v40, v25
	s_wait_loadcnt 0x0
	v_mul_f32_e32 v18, v48, v52
	v_dual_mul_f32 v19, v47, v52 :: v_dual_fmac_f32 v16, v45, v49
	v_fmac_f32_e32 v12, v40, v24
	v_fma_f32 v11, v39, v22, -v11
	v_fmac_f32_e32 v14, v43, v26
	v_fma_f32 v13, v41, v24, -v13
	v_fma_f32 v15, v44, v26, -v15
	v_fma_f32 v17, v46, v49, -v17
	v_fmac_f32_e32 v18, v47, v51
	v_fma_f32 v19, v48, v51, -v19
	ds_store_2addr_b64 v55, v[0:1], v[2:3] offset0:135 offset1:180
	ds_store_2addr_b64 v57, v[4:5], v[6:7] offset0:97 offset1:142
	;; [unrolled: 1-line block ×5, first 2 shown]
.LBB0_3:
	s_or_b32 exec_lo, exec_lo, s3
	v_mov_b32_e32 v16, 0
	v_mov_b32_e32 v17, 0
	global_wb scope:SCOPE_SE
	s_wait_dscnt 0x0
	s_wait_kmcnt 0x0
	s_barrier_signal -1
	s_barrier_wait -1
	global_inv scope:SCOPE_SE
                                        ; implicit-def: $vgpr10
                                        ; implicit-def: $vgpr4
                                        ; implicit-def: $vgpr12
                                        ; implicit-def: $vgpr28
                                        ; implicit-def: $vgpr22
                                        ; implicit-def: $vgpr26
	s_and_saveexec_b32 s2, vcc_lo
	s_cbranch_execz .LBB0_5
; %bb.4:
	v_lshl_add_u32 v0, v42, 3, v69
	s_delay_alu instid0(VALU_DEP_1)
	v_add_nc_u32_e32 v1, 0x800, v0
	ds_load_2addr_b64 v[16:19], v0 offset1:45
	ds_load_2addr_b64 v[24:27], v0 offset0:90 offset1:135
	ds_load_2addr_b64 v[20:23], v0 offset0:180 offset1:225
	;; [unrolled: 1-line block ×5, first 2 shown]
	ds_load_b64 v[28:29], v0 offset:4320
.LBB0_5:
	s_wait_alu 0xfffe
	s_or_b32 exec_lo, exec_lo, s2
	s_wait_dscnt 0x0
	v_dual_sub_f32 v35, v19, v29 :: v_dual_sub_f32 v34, v18, v28
	v_dual_add_f32 v59, v28, v18 :: v_dual_add_f32 v60, v29, v19
	v_dual_add_f32 v66, v14, v24 :: v_dual_add_f32 v67, v15, v25
	s_delay_alu instid0(VALU_DEP_3) | instskip(SKIP_1) | instid1(VALU_DEP_2)
	v_dual_mul_f32 v47, 0xbf52af12, v35 :: v_dual_mul_f32 v48, 0xbf52af12, v34
	v_dual_mul_f32 v43, 0xbeedf032, v35 :: v_dual_mul_f32 v44, 0xbeedf032, v34
	v_dual_sub_f32 v37, v24, v14 :: v_dual_fmamk_f32 v2, v59, 0x3f116cb1, v47
	s_delay_alu instid0(VALU_DEP_3) | instskip(SKIP_1) | instid1(VALU_DEP_4)
	v_fma_f32 v3, 0x3f116cb1, v60, -v48
	v_dual_mul_f32 v53, 0xbf7e222b, v34 :: v_dual_sub_f32 v36, v25, v15
	v_fma_f32 v1, 0x3f62ad3f, v60, -v44
	s_delay_alu instid0(VALU_DEP_4) | instskip(SKIP_2) | instid1(VALU_DEP_4)
	v_dual_mul_f32 v54, 0xbf6f5d39, v37 :: v_dual_sub_f32 v41, v26, v12
	v_fmamk_f32 v0, v59, 0x3f62ad3f, v43
	v_dual_add_f32 v2, v2, v16 :: v_dual_add_f32 v3, v3, v17
	v_add_f32_e32 v1, v1, v17
	s_delay_alu instid0(VALU_DEP_3)
	v_dual_mul_f32 v51, 0xbf7e222b, v35 :: v_dual_add_f32 v0, v0, v16
	v_dual_mul_f32 v45, 0xbf52af12, v36 :: v_dual_mul_f32 v46, 0xbf52af12, v37
	v_fma_f32 v39, 0xbeb58ec6, v67, -v54
	v_mul_f32_e32 v52, 0xbf6f5d39, v36
	v_fma_f32 v31, 0x3df6dbef, v60, -v53
	v_sub_f32_e32 v74, v21, v7
	v_fma_f32 v33, 0x3f116cb1, v67, -v46
	v_fmamk_f32 v30, v59, 0x3df6dbef, v51
	v_dual_add_f32 v3, v39, v3 :: v_dual_mul_f32 v62, 0xbe750f2a, v37
	s_delay_alu instid0(VALU_DEP_4) | instskip(SKIP_3) | instid1(VALU_DEP_4)
	v_dual_sub_f32 v40, v27, v13 :: v_dual_mul_f32 v55, 0xbf6f5d39, v74
	v_dual_fmamk_f32 v32, v66, 0x3f116cb1, v45 :: v_dual_add_f32 v79, v12, v26
	v_add_f32_e32 v31, v31, v17
	v_dual_add_f32 v1, v33, v1 :: v_dual_add_f32 v30, v30, v16
	v_dual_mul_f32 v58, 0xbe750f2a, v40 :: v_dual_mul_f32 v61, 0xbe750f2a, v41
	v_fma_f32 v33, 0xbf788fa5, v67, -v62
	v_fmamk_f32 v38, v66, 0xbeb58ec6, v52
	s_delay_alu instid0(VALU_DEP_3) | instskip(SKIP_1) | instid1(VALU_DEP_3)
	v_dual_add_f32 v0, v32, v0 :: v_dual_fmamk_f32 v39, v79, 0xbf788fa5, v58
	v_mul_f32_e32 v57, 0xbe750f2a, v36
	v_dual_add_f32 v31, v33, v31 :: v_dual_add_f32 v2, v38, v2
	v_dual_add_f32 v80, v13, v27 :: v_dual_mul_f32 v49, 0xbf7e222b, v40
	v_mul_f32_e32 v77, 0x3f6f5d39, v41
	s_delay_alu instid0(VALU_DEP_4) | instskip(NEXT) | instid1(VALU_DEP_4)
	v_dual_fmamk_f32 v32, v66, 0xbf788fa5, v57 :: v_dual_add_f32 v85, v7, v21
	v_add_f32_e32 v2, v39, v2
	v_add_f32_e32 v91, v4, v22
	s_delay_alu instid0(VALU_DEP_4) | instskip(SKIP_3) | instid1(VALU_DEP_4)
	v_fma_f32 v33, 0xbeb58ec6, v80, -v77
	v_mul_f32_e32 v50, 0xbf7e222b, v41
	v_dual_sub_f32 v109, v23, v5 :: v_dual_add_f32 v84, v6, v20
	v_add_f32_e32 v89, v5, v23
	v_add_f32_e32 v31, v33, v31
	s_delay_alu instid0(VALU_DEP_4)
	v_fma_f32 v38, 0x3df6dbef, v80, -v50
	v_add_f32_e32 v30, v32, v30
	v_fmamk_f32 v32, v79, 0x3df6dbef, v49
	v_mul_f32_e32 v63, 0xbf29c268, v109
	v_sub_f32_e32 v111, v9, v11
	v_dual_add_f32 v1, v38, v1 :: v_dual_mul_f32 v68, 0x3f6f5d39, v40
	s_delay_alu instid0(VALU_DEP_4) | instskip(SKIP_4) | instid1(VALU_DEP_4)
	v_add_f32_e32 v0, v32, v0
	v_fma_f32 v32, 0xbf788fa5, v80, -v61
	v_dual_mul_f32 v86, 0x3eedf032, v74 :: v_dual_mul_f32 v97, 0x3eedf032, v40
	v_add_f32_e32 v90, v10, v8
	v_sub_f32_e32 v112, v8, v10
	v_add_f32_e32 v3, v32, v3
	v_sub_f32_e32 v108, v20, v6
	v_fmamk_f32 v32, v79, 0xbeb58ec6, v68
	v_add_f32_e32 v94, v11, v9
	v_dual_mul_f32 v88, 0xbf29c268, v111 :: v_dual_mul_f32 v95, 0xbf29c268, v112
	s_delay_alu instid0(VALU_DEP_4) | instskip(SKIP_2) | instid1(VALU_DEP_4)
	v_mul_f32_e32 v78, 0x3f29c268, v108
	v_mul_f32_e32 v76, 0x3f29c268, v74
	v_dual_sub_f32 v110, v22, v4 :: v_dual_mul_f32 v81, 0x3eedf032, v111
	v_fma_f32 v100, 0xbf3f9e67, v94, -v95
	s_delay_alu instid0(VALU_DEP_4) | instskip(SKIP_3) | instid1(VALU_DEP_4)
	v_fma_f32 v33, 0xbf3f9e67, v85, -v78
	v_mul_f32_e32 v72, 0x3f7e222b, v109
	v_add_f32_e32 v30, v32, v30
	v_mul_f32_e32 v65, 0xbf29c268, v110
	v_dual_mul_f32 v82, 0x3f7e222b, v110 :: v_dual_add_f32 v3, v33, v3
	v_mul_f32_e32 v56, 0xbf6f5d39, v108
	v_fmamk_f32 v33, v91, 0x3df6dbef, v72
	v_mul_f32_e32 v75, 0xbe750f2a, v112
	v_dual_mul_f32 v92, 0x3eedf032, v108 :: v_dual_mul_f32 v103, 0x3eedf032, v41
	s_delay_alu instid0(VALU_DEP_4)
	v_fma_f32 v32, 0xbeb58ec6, v85, -v56
	v_mul_f32_e32 v87, 0xbf52af12, v109
	v_mul_f32_e32 v73, 0xbe750f2a, v111
	;; [unrolled: 1-line block ×3, first 2 shown]
	v_dual_mul_f32 v96, 0xbf6f5d39, v35 :: v_dual_mul_f32 v105, 0xbf6f5d39, v34
	v_add_f32_e32 v1, v32, v1
	v_fmamk_f32 v32, v84, 0xbf3f9e67, v76
	v_mul_f32_e32 v115, 0xbf29c268, v34
	v_fma_f32 v124, 0xbf788fa5, v84, -v122
	v_fmac_f32_e32 v122, 0xbf788fa5, v84
	v_mul_f32_e32 v118, 0xbf52af12, v40
	v_add_f32_e32 v2, v32, v2
	v_fma_f32 v32, 0xbf3f9e67, v89, -v65
	v_mul_f32_e32 v93, 0xbf52af12, v110
	v_mul_f32_e32 v98, 0x3f29c268, v36
	v_fma_f32 v119, 0x3f116cb1, v79, -v118
	s_delay_alu instid0(VALU_DEP_4)
	v_dual_fmac_f32 v118, 0x3f116cb1, v79 :: v_dual_add_f32 v1, v32, v1
	v_add_f32_e32 v32, v33, v2
	v_fma_f32 v2, 0x3df6dbef, v89, -v82
	v_fmamk_f32 v38, v84, 0xbeb58ec6, v55
	v_fmamk_f32 v33, v90, 0xbf788fa5, v73
	v_mul_f32_e32 v83, 0x3eedf032, v112
	s_delay_alu instid0(VALU_DEP_4) | instskip(NEXT) | instid1(VALU_DEP_4)
	v_dual_fmamk_f32 v116, v60, 0xbf3f9e67, v115 :: v_dual_add_f32 v39, v2, v3
	v_add_f32_e32 v0, v38, v0
	v_fmamk_f32 v38, v91, 0xbf3f9e67, v63
	v_mul_f32_e32 v106, 0x3f29c268, v37
	v_mul_f32_e32 v101, 0x3e750f2a, v109
	v_dual_mul_f32 v99, 0xbf7e222b, v74 :: v_dual_mul_f32 v102, 0xbf7e222b, v108
	s_delay_alu instid0(VALU_DEP_4)
	v_add_f32_e32 v0, v38, v0
	v_fma_f32 v38, 0xbf788fa5, v94, -v75
	v_mul_f32_e32 v113, 0xbf29c268, v35
	v_mul_f32_e32 v120, 0xbf52af12, v41
	v_fma_f32 v115, 0xbf3f9e67, v60, -v115
	v_dual_add_f32 v2, v33, v0 :: v_dual_fmamk_f32 v33, v84, 0x3f62ad3f, v86
	v_fmamk_f32 v0, v90, 0x3f62ad3f, v81
	v_add_f32_e32 v3, v38, v1
	v_fma_f32 v1, 0x3f62ad3f, v94, -v83
	v_fma_f32 v38, 0x3f62ad3f, v85, -v92
	v_add_f32_e32 v30, v33, v30
	v_add_f32_e32 v0, v0, v32
	v_fmamk_f32 v32, v91, 0x3f116cb1, v87
	v_fma_f32 v33, 0x3f116cb1, v89, -v93
	v_add_f32_e32 v31, v38, v31
	v_add_f32_e32 v1, v1, v39
	s_delay_alu instid0(VALU_DEP_4) | instskip(NEXT) | instid1(VALU_DEP_3)
	v_dual_fmamk_f32 v39, v59, 0xbeb58ec6, v96 :: v_dual_add_f32 v30, v32, v30
	v_dual_fmamk_f32 v32, v90, 0xbf3f9e67, v88 :: v_dual_add_f32 v31, v33, v31
	v_fma_f32 v33, 0xbeb58ec6, v60, -v105
	v_fma_f32 v107, 0xbf3f9e67, v59, -v113
	s_delay_alu instid0(VALU_DEP_3) | instskip(SKIP_3) | instid1(VALU_DEP_4)
	v_dual_fmac_f32 v113, 0xbf3f9e67, v59 :: v_dual_add_f32 v38, v32, v30
	v_add_f32_e32 v30, v39, v16
	v_fmamk_f32 v32, v66, 0xbf3f9e67, v98
	v_fmamk_f32 v39, v79, 0x3f62ad3f, v97
	v_dual_fmamk_f32 v104, v84, 0x3df6dbef, v99 :: v_dual_add_f32 v113, v113, v16
	s_delay_alu instid0(VALU_DEP_3) | instskip(SKIP_3) | instid1(VALU_DEP_4)
	v_dual_mul_f32 v117, 0x3f7e222b, v37 :: v_dual_add_f32 v30, v32, v30
	v_add_f32_e32 v32, v33, v17
	v_fma_f32 v33, 0xbf3f9e67, v67, -v106
	v_mul_f32_e32 v114, 0x3f7e222b, v36
	v_dual_mul_f32 v123, 0x3e750f2a, v108 :: v_dual_add_f32 v30, v39, v30
	s_delay_alu instid0(VALU_DEP_3) | instskip(SKIP_2) | instid1(VALU_DEP_4)
	v_dual_add_f32 v39, v100, v31 :: v_dual_add_f32 v32, v33, v32
	v_fma_f32 v33, 0x3f62ad3f, v80, -v103
	v_mul_f32_e32 v100, 0x3f52af12, v111
	v_add_f32_e32 v30, v104, v30
	v_dual_mul_f32 v104, 0x3e750f2a, v110 :: v_dual_add_f32 v115, v115, v17
	s_delay_alu instid0(VALU_DEP_4) | instskip(SKIP_4) | instid1(VALU_DEP_4)
	v_add_f32_e32 v31, v33, v32
	v_fma_f32 v32, 0x3df6dbef, v85, -v102
	v_fmamk_f32 v33, v91, 0xbf788fa5, v101
	v_mul_f32_e32 v125, 0x3eedf032, v109
	v_mul_f32_e32 v35, 0xbe750f2a, v35
	v_dual_mul_f32 v36, 0x3eedf032, v36 :: v_dual_add_f32 v31, v32, v31
	s_delay_alu instid0(VALU_DEP_4)
	v_add_f32_e32 v30, v33, v30
	v_fma_f32 v32, 0xbf788fa5, v89, -v104
	v_fmamk_f32 v33, v90, 0x3f116cb1, v100
	v_mul_f32_e32 v74, 0x3f52af12, v74
	v_mul_f32_e32 v108, 0x3f52af12, v108
	s_clause 0x1
	s_load_b64 s[4:5], s[0:1], 0x20
	s_load_b64 s[2:3], s[0:1], 0x8
	v_dual_add_f32 v31, v32, v31 :: v_dual_add_f32 v32, v33, v30
	v_add_f32_e32 v30, v107, v16
	v_fma_f32 v33, 0x3df6dbef, v66, -v114
	v_mul_f32_e32 v107, 0x3f52af12, v112
	global_wb scope:SCOPE_SE
	s_wait_kmcnt 0x0
	s_barrier_signal -1
	s_barrier_wait -1
	v_dual_add_f32 v30, v33, v30 :: v_dual_add_f32 v33, v116, v17
	v_fmamk_f32 v116, v67, 0x3df6dbef, v117
	v_fma_f32 v121, 0x3f116cb1, v94, -v107
	v_fma_f32 v117, 0x3df6dbef, v67, -v117
	s_delay_alu instid0(VALU_DEP_4) | instskip(NEXT) | instid1(VALU_DEP_3)
	v_dual_add_f32 v30, v119, v30 :: v_dual_fmamk_f32 v119, v80, 0x3f116cb1, v120
	v_dual_add_f32 v116, v116, v33 :: v_dual_add_f32 v33, v121, v31
	v_mul_f32_e32 v121, 0x3eedf032, v110
	v_mul_f32_e32 v37, 0x3eedf032, v37
	;; [unrolled: 1-line block ×3, first 2 shown]
	s_delay_alu instid0(VALU_DEP_4) | instskip(SKIP_2) | instid1(VALU_DEP_3)
	v_dual_add_f32 v31, v119, v116 :: v_dual_fmamk_f32 v116, v85, 0xbf788fa5, v123
	v_fma_f32 v119, 0x3f62ad3f, v91, -v125
	v_dual_fmac_f32 v125, 0x3f62ad3f, v91 :: v_dual_add_f32 v30, v124, v30
	v_dual_mul_f32 v110, 0xbf6f5d39, v110 :: v_dual_add_f32 v31, v116, v31
	v_fmamk_f32 v116, v89, 0x3f62ad3f, v121
	global_inv scope:SCOPE_SE
	v_dual_add_f32 v30, v119, v30 :: v_dual_mul_f32 v119, 0xbf6f5d39, v112
	v_dual_add_f32 v31, v116, v31 :: v_dual_fmac_f32 v114, 0x3df6dbef, v66
	s_delay_alu instid0(VALU_DEP_1) | instskip(SKIP_1) | instid1(VALU_DEP_2)
	v_dual_mul_f32 v116, 0xbf6f5d39, v111 :: v_dual_add_f32 v113, v114, v113
	v_add_f32_e32 v114, v117, v115
	v_fma_f32 v117, 0xbeb58ec6, v90, -v116
	s_delay_alu instid0(VALU_DEP_3) | instskip(SKIP_1) | instid1(VALU_DEP_3)
	v_add_f32_e32 v113, v118, v113
	v_fma_f32 v118, 0xbeb58ec6, v94, -v119
	v_dual_add_f32 v30, v117, v30 :: v_dual_fmamk_f32 v117, v94, 0xbeb58ec6, v119
	s_delay_alu instid0(VALU_DEP_1) | instskip(SKIP_3) | instid1(VALU_DEP_2)
	v_add_f32_e32 v31, v117, v31
	v_mul_f32_e32 v117, 0xbe750f2a, v34
	v_fma_f32 v34, 0xbf788fa5, v59, -v35
	v_fmac_f32_e32 v35, 0xbf788fa5, v59
	v_add_f32_e32 v119, v34, v16
	v_fma_f32 v115, 0x3f116cb1, v80, -v120
	v_fma_f32 v120, 0x3f62ad3f, v66, -v36
	s_delay_alu instid0(VALU_DEP_4) | instskip(SKIP_1) | instid1(VALU_DEP_4)
	v_add_f32_e32 v35, v35, v16
	v_mul_f32_e32 v40, 0xbf29c268, v40
	v_add_f32_e32 v114, v115, v114
	v_fma_f32 v115, 0xbf788fa5, v85, -v123
	s_delay_alu instid0(VALU_DEP_1) | instskip(SKIP_3) | instid1(VALU_DEP_3)
	v_add_f32_e32 v114, v115, v114
	v_fma_f32 v115, 0x3f62ad3f, v89, -v121
	v_fmamk_f32 v121, v67, 0x3f62ad3f, v37
	v_fma_f32 v37, 0x3f62ad3f, v67, -v37
	v_dual_add_f32 v114, v115, v114 :: v_dual_fmamk_f32 v115, v60, 0xbf788fa5, v117
	v_add_f32_e32 v113, v122, v113
	s_delay_alu instid0(VALU_DEP_2) | instskip(NEXT) | instid1(VALU_DEP_2)
	v_add_f32_e32 v115, v115, v17
	v_add_f32_e32 v113, v125, v113
	s_delay_alu instid0(VALU_DEP_2) | instskip(NEXT) | instid1(VALU_DEP_1)
	v_dual_add_f32 v115, v121, v115 :: v_dual_fmac_f32 v116, 0xbeb58ec6, v90
	v_add_f32_e32 v34, v116, v113
	v_add_f32_e32 v113, v120, v119
	v_fma_f32 v116, 0xbf3f9e67, v79, -v40
	v_fmamk_f32 v119, v80, 0xbf3f9e67, v41
	s_delay_alu instid0(VALU_DEP_2) | instskip(SKIP_2) | instid1(VALU_DEP_2)
	v_add_f32_e32 v113, v116, v113
	v_fma_f32 v116, 0xbf788fa5, v60, -v117
	v_fma_f32 v117, 0x3f116cb1, v84, -v74
	v_dual_add_f32 v115, v119, v115 :: v_dual_add_f32 v116, v116, v17
	s_delay_alu instid0(VALU_DEP_2) | instskip(SKIP_1) | instid1(VALU_DEP_2)
	v_dual_add_f32 v113, v117, v113 :: v_dual_fmac_f32 v36, 0x3f62ad3f, v66
	v_mul_f32_e32 v109, 0xbf6f5d39, v109
	v_dual_add_f32 v35, v36, v35 :: v_dual_add_f32 v36, v37, v116
	v_fmac_f32_e32 v40, 0xbf3f9e67, v79
	v_fma_f32 v37, 0xbf3f9e67, v80, -v41
	s_delay_alu instid0(VALU_DEP_4) | instskip(SKIP_1) | instid1(VALU_DEP_4)
	v_fma_f32 v116, 0xbeb58ec6, v91, -v109
	v_fmac_f32_e32 v109, 0xbeb58ec6, v91
	v_dual_add_f32 v35, v40, v35 :: v_dual_fmac_f32 v74, 0x3f116cb1, v84
	s_delay_alu instid0(VALU_DEP_1) | instskip(SKIP_3) | instid1(VALU_DEP_3)
	v_dual_add_f32 v36, v37, v36 :: v_dual_add_f32 v35, v74, v35
	v_fma_f32 v37, 0x3f116cb1, v85, -v108
	v_fmamk_f32 v41, v85, 0x3f116cb1, v108
	v_mul_f32_e32 v74, 0x3f7e222b, v111
	v_add_f32_e32 v36, v37, v36
	v_fma_f32 v37, 0xbeb58ec6, v89, -v110
	s_delay_alu instid0(VALU_DEP_1) | instskip(SKIP_3) | instid1(VALU_DEP_1)
	v_add_f32_e32 v111, v37, v36
	v_fmamk_f32 v108, v89, 0xbeb58ec6, v110
	v_mul_f32_e32 v110, 0x3f7e222b, v112
	v_dual_add_f32 v40, v41, v115 :: v_dual_add_f32 v41, v116, v113
	v_dual_fmamk_f32 v37, v94, 0x3df6dbef, v110 :: v_dual_add_f32 v40, v108, v40
	v_add_f32_e32 v108, v109, v35
	v_fma_f32 v109, 0x3df6dbef, v90, -v74
	v_fmac_f32_e32 v74, 0x3df6dbef, v90
	v_fma_f32 v110, 0x3df6dbef, v94, -v110
	v_add_f32_e32 v35, v118, v114
	v_add_f32_e32 v37, v37, v40
	v_add_f32_e32 v36, v109, v41
	v_add_f32_e32 v40, v74, v108
	v_add_f32_e32 v41, v110, v111
	v_mul_lo_u16 v74, v70, 13
	s_and_saveexec_b32 s0, vcc_lo
	s_cbranch_execz .LBB0_7
; %bb.6:
	v_dual_mul_f32 v108, 0x3f62ad3f, v59 :: v_dual_mul_f32 v109, 0x3f62ad3f, v60
	v_dual_mul_f32 v110, 0x3f116cb1, v59 :: v_dual_mul_f32 v111, 0x3f116cb1, v60
	;; [unrolled: 1-line block ×11, first 2 shown]
	v_dual_mul_f32 v91, 0xbf788fa5, v91 :: v_dual_add_f32 v60, v105, v60
	v_dual_mul_f32 v120, 0x3df6dbef, v79 :: v_dual_mul_f32 v121, 0x3df6dbef, v80
	v_dual_mul_f32 v122, 0xbf788fa5, v79 :: v_dual_mul_f32 v123, 0xbf788fa5, v80
	;; [unrolled: 1-line block ×4, first 2 shown]
	v_dual_mul_f32 v105, 0xbf788fa5, v90 :: v_dual_add_f32 v60, v60, v17
	v_dual_add_f32 v67, v106, v67 :: v_dual_mul_f32 v106, 0x3f62ad3f, v94
	v_dual_sub_f32 v59, v59, v96 :: v_dual_mul_f32 v96, 0xbf3f9e67, v90
	v_dual_mul_f32 v126, 0xbeb58ec6, v84 :: v_dual_mul_f32 v127, 0xbeb58ec6, v85
	v_dual_mul_f32 v128, 0xbf3f9e67, v84 :: v_dual_mul_f32 v129, 0xbf3f9e67, v85
	;; [unrolled: 1-line block ×4, first 2 shown]
	v_dual_mul_f32 v139, 0x3f62ad3f, v90 :: v_dual_add_f32 v60, v67, v60
	v_dual_mul_f32 v140, 0xbf3f9e67, v94 :: v_dual_add_f32 v67, v103, v80
	v_dual_add_f32 v59, v59, v16 :: v_dual_sub_f32 v66, v66, v98
	v_dual_mul_f32 v80, 0x3f116cb1, v94 :: v_dual_add_f32 v53, v53, v113
	v_dual_mul_f32 v89, 0xbf788fa5, v89 :: v_dual_mul_f32 v138, 0xbf788fa5, v94
	s_delay_alu instid0(VALU_DEP_4) | instskip(NEXT) | instid1(VALU_DEP_4)
	v_dual_add_f32 v60, v67, v60 :: v_dual_add_f32 v67, v102, v85
	v_dual_add_f32 v59, v66, v59 :: v_dual_sub_f32 v66, v79, v97
	s_delay_alu instid0(VALU_DEP_4) | instskip(NEXT) | instid1(VALU_DEP_3)
	v_dual_add_f32 v53, v53, v17 :: v_dual_add_f32 v62, v62, v119
	v_dual_add_f32 v60, v67, v60 :: v_dual_add_f32 v67, v104, v89
	s_delay_alu instid0(VALU_DEP_3) | instskip(NEXT) | instid1(VALU_DEP_3)
	v_add_f32_e32 v59, v66, v59
	v_dual_sub_f32 v66, v84, v99 :: v_dual_add_f32 v53, v62, v53
	v_add_f32_e32 v62, v77, v125
	s_delay_alu instid0(VALU_DEP_4) | instskip(SKIP_4) | instid1(VALU_DEP_4)
	v_add_f32_e32 v60, v67, v60
	v_add_f32_e32 v67, v107, v80
	v_sub_f32_e32 v79, v112, v51
	v_add_f32_e32 v59, v66, v59
	v_dual_add_f32 v53, v62, v53 :: v_dual_add_f32 v62, v92, v131
	v_dual_add_f32 v51, v67, v60 :: v_dual_add_f32 v48, v48, v111
	v_add_f32_e32 v60, v93, v137
	v_sub_f32_e32 v57, v118, v57
	s_delay_alu instid0(VALU_DEP_4) | instskip(NEXT) | instid1(VALU_DEP_4)
	v_dual_add_f32 v53, v62, v53 :: v_dual_add_f32 v62, v79, v16
	v_add_f32_e32 v67, v48, v17
	v_add_f32_e32 v54, v54, v117
	v_sub_f32_e32 v47, v110, v47
	s_delay_alu instid0(VALU_DEP_4) | instskip(SKIP_1) | instid1(VALU_DEP_4)
	v_dual_add_f32 v53, v60, v53 :: v_dual_add_f32 v60, v95, v140
	v_dual_add_f32 v57, v57, v62 :: v_dual_sub_f32 v62, v124, v68
	v_add_f32_e32 v54, v54, v67
	v_sub_f32_e32 v52, v116, v52
	s_delay_alu instid0(VALU_DEP_4) | instskip(NEXT) | instid1(VALU_DEP_4)
	v_add_f32_e32 v48, v60, v53
	v_dual_add_f32 v60, v61, v123 :: v_dual_add_f32 v53, v62, v57
	v_add_f32_e32 v47, v47, v16
	v_sub_f32_e32 v57, v130, v86
	v_add_f32_e32 v18, v18, v16
	s_delay_alu instid0(VALU_DEP_4) | instskip(NEXT) | instid1(VALU_DEP_4)
	v_add_f32_e32 v54, v60, v54
	v_dual_add_f32 v60, v78, v129 :: v_dual_add_f32 v47, v52, v47
	v_sub_f32_e32 v52, v122, v58
	v_add_f32_e32 v58, v82, v135
	v_add_f32_e32 v24, v24, v18
	s_delay_alu instid0(VALU_DEP_4) | instskip(SKIP_3) | instid1(VALU_DEP_4)
	v_add_f32_e32 v54, v60, v54
	v_dual_sub_f32 v66, v91, v101 :: v_dual_mul_f32 v77, 0x3f116cb1, v90
	v_add_f32_e32 v47, v52, v47
	v_sub_f32_e32 v52, v128, v76
	v_dual_add_f32 v54, v58, v54 :: v_dual_add_f32 v53, v57, v53
	v_sub_f32_e32 v57, v136, v87
	s_delay_alu instid0(VALU_DEP_3) | instskip(SKIP_2) | instid1(VALU_DEP_4)
	v_dual_add_f32 v19, v19, v17 :: v_dual_add_f32 v52, v52, v47
	v_dual_add_f32 v58, v83, v106 :: v_dual_add_f32 v59, v66, v59
	v_sub_f32_e32 v66, v77, v100
	v_add_f32_e32 v53, v57, v53
	v_sub_f32_e32 v57, v96, v88
	v_add_f32_e32 v19, v25, v19
	;; [unrolled: 2-line block ×3, first 2 shown]
	v_add_f32_e32 v26, v44, v109
	v_dual_add_f32 v47, v57, v53 :: v_dual_add_f32 v18, v58, v54
	v_add_f32_e32 v19, v27, v19
	s_delay_alu instid0(VALU_DEP_4) | instskip(SKIP_1) | instid1(VALU_DEP_2)
	v_dual_sub_f32 v27, v139, v81 :: v_dual_add_f32 v20, v20, v24
	v_add_f32_e32 v25, v25, v52
	v_dual_add_f32 v19, v21, v19 :: v_dual_add_f32 v20, v22, v20
	s_delay_alu instid0(VALU_DEP_1) | instskip(SKIP_1) | instid1(VALU_DEP_2)
	v_dual_add_f32 v19, v23, v19 :: v_dual_add_f32 v8, v8, v20
	v_sub_f32_e32 v21, v108, v43
	v_dual_sub_f32 v20, v120, v49 :: v_dual_add_f32 v9, v9, v19
	v_add_f32_e32 v24, v46, v115
	s_delay_alu instid0(VALU_DEP_4) | instskip(NEXT) | instid1(VALU_DEP_4)
	v_add_f32_e32 v8, v10, v8
	v_dual_add_f32 v17, v26, v17 :: v_dual_add_f32 v16, v21, v16
	v_sub_f32_e32 v21, v114, v45
	v_add_f32_e32 v9, v11, v9
	s_delay_alu instid0(VALU_DEP_4) | instskip(NEXT) | instid1(VALU_DEP_3)
	v_dual_add_f32 v19, v50, v121 :: v_dual_add_f32 v4, v4, v8
	v_dual_add_f32 v17, v24, v17 :: v_dual_add_f32 v16, v21, v16
	s_delay_alu instid0(VALU_DEP_3) | instskip(NEXT) | instid1(VALU_DEP_2)
	v_dual_add_f32 v5, v5, v9 :: v_dual_sub_f32 v8, v126, v55
	v_dual_add_f32 v11, v56, v127 :: v_dual_add_f32 v10, v19, v17
	s_delay_alu instid0(VALU_DEP_2) | instskip(SKIP_1) | instid1(VALU_DEP_3)
	v_dual_add_f32 v16, v20, v16 :: v_dual_add_f32 v5, v7, v5
	v_dual_add_f32 v4, v6, v4 :: v_dual_add_f32 v17, v27, v25
	;; [unrolled: 1-line block ×3, first 2 shown]
	v_add_f32_e32 v10, v65, v133
	s_delay_alu instid0(VALU_DEP_4) | instskip(SKIP_2) | instid1(VALU_DEP_4)
	v_dual_add_f32 v6, v8, v16 :: v_dual_add_f32 v5, v13, v5
	v_sub_f32_e32 v7, v132, v63
	v_add_f32_e32 v4, v12, v4
	v_dual_add_f32 v8, v10, v9 :: v_dual_add_f32 v9, v75, v138
	s_delay_alu instid0(VALU_DEP_4) | instskip(NEXT) | instid1(VALU_DEP_4)
	v_add_f32_e32 v10, v15, v5
	v_dual_add_f32 v6, v7, v6 :: v_dual_sub_f32 v7, v105, v73
	s_delay_alu instid0(VALU_DEP_4) | instskip(NEXT) | instid1(VALU_DEP_2)
	v_dual_add_f32 v11, v14, v4 :: v_dual_and_b32 v12, 0xffff, v74
	v_dual_add_f32 v5, v9, v8 :: v_dual_add_f32 v4, v7, v6
	s_delay_alu instid0(VALU_DEP_2) | instskip(NEXT) | instid1(VALU_DEP_3)
	v_dual_add_f32 v7, v29, v10 :: v_dual_add_f32 v6, v28, v11
	v_add_lshl_u32 v8, v42, v12, 3
	ds_store_2addr_b64 v8, v[6:7], v[4:5] offset1:1
	ds_store_2addr_b64 v8, v[17:18], v[47:48] offset0:2 offset1:3
	ds_store_2addr_b64 v8, v[50:51], v[30:31] offset0:4 offset1:5
	;; [unrolled: 1-line block ×5, first 2 shown]
	ds_store_b64 v8, v[2:3] offset:96
.LBB0_7:
	s_wait_alu 0xfffe
	s_or_b32 exec_lo, exec_lo, s0
	v_add_lshl_u32 v72, v42, v70, 3
	global_wb scope:SCOPE_SE
	s_wait_dscnt 0x0
	s_barrier_signal -1
	s_barrier_wait -1
	global_inv scope:SCOPE_SE
	v_add_nc_u32_e32 v4, 0x400, v72
	v_cmp_gt_u16_e64 s0, 52, v70
	ds_load_2addr_b64 v[20:23], v72 offset1:117
	ds_load_2addr_b64 v[24:27], v4 offset0:106 offset1:223
	ds_load_b64 v[28:29], v72 offset:3744
	s_and_saveexec_b32 s1, s0
	s_cbranch_execz .LBB0_9
; %bb.8:
	v_add_nc_u32_e32 v8, 0x800, v72
	ds_load_2addr_b64 v[4:7], v72 offset0:65 offset1:182
	ds_load_2addr_b64 v[8:11], v8 offset0:43 offset1:160
	ds_load_b64 v[32:33], v72 offset:4264
	s_wait_dscnt 0x2
	v_dual_mov_b32 v37, v7 :: v_dual_mov_b32 v36, v6
	s_wait_dscnt 0x1
	v_dual_mov_b32 v41, v9 :: v_dual_mov_b32 v30, v4
	v_dual_mov_b32 v35, v11 :: v_dual_mov_b32 v40, v8
	;; [unrolled: 1-line block ×3, first 2 shown]
.LBB0_9:
	s_wait_alu 0xfffe
	s_or_b32 exec_lo, exec_lo, s1
	v_and_b32_e32 v4, 0xff, v70
	s_delay_alu instid0(VALU_DEP_1) | instskip(NEXT) | instid1(VALU_DEP_1)
	v_mul_lo_u16 v4, 0x4f, v4
	v_lshrrev_b16 v43, 10, v4
	v_add_nc_u16 v4, v70, 0x41
	s_delay_alu instid0(VALU_DEP_2) | instskip(NEXT) | instid1(VALU_DEP_1)
	v_mul_lo_u16 v5, v43, 13
	v_sub_nc_u16 v5, v70, v5
	s_delay_alu instid0(VALU_DEP_1) | instskip(NEXT) | instid1(VALU_DEP_1)
	v_and_b32_e32 v44, 0xff, v5
	v_lshlrev_b32_e32 v5, 5, v44
	s_clause 0x1
	global_load_b128 v[16:19], v5, s[2:3]
	global_load_b128 v[12:15], v5, s[2:3] offset:16
	v_and_b32_e32 v6, 0xff, v4
	v_and_b32_e32 v43, 0xffff, v43
	s_wait_loadcnt_dscnt 0x1
	v_dual_mul_f32 v45, v25, v19 :: v_dual_mul_f32 v48, v26, v13
	s_delay_alu instid0(VALU_DEP_3) | instskip(NEXT) | instid1(VALU_DEP_3)
	v_mul_lo_u16 v6, 0x4f, v6
	v_mul_u32_u24_e32 v43, 0x41, v43
	s_wait_dscnt 0x0
	v_mul_f32_e32 v49, v29, v15
	v_mul_f32_e32 v52, v28, v15
	v_fma_f32 v45, v24, v18, -v45
	v_lshrrev_b16 v53, 10, v6
	v_dual_mul_f32 v44, v22, v17 :: v_dual_add_nc_u32 v43, v43, v44
	v_fma_f32 v51, v28, v14, -v49
	v_mul_f32_e32 v46, v24, v19
	s_delay_alu instid0(VALU_DEP_4) | instskip(NEXT) | instid1(VALU_DEP_4)
	v_mul_lo_u16 v6, v53, 13
	v_add_lshl_u32 v77, v42, v43, 3
	v_mul_f32_e32 v43, v23, v17
	v_and_b32_e32 v76, 0xffff, v53
	v_mul_f32_e32 v47, v27, v13
	v_sub_nc_u16 v4, v4, v6
	s_delay_alu instid0(VALU_DEP_4) | instskip(NEXT) | instid1(VALU_DEP_3)
	v_fma_f32 v43, v22, v16, -v43
	v_fma_f32 v47, v26, v12, -v47
	s_delay_alu instid0(VALU_DEP_3) | instskip(NEXT) | instid1(VALU_DEP_3)
	v_and_b32_e32 v75, 0xff, v4
	v_sub_f32_e32 v55, v43, v51
	s_delay_alu instid0(VALU_DEP_2)
	v_lshlrev_b32_e32 v4, 5, v75
	s_clause 0x1
	global_load_b128 v[8:11], v4, s[2:3]
	global_load_b128 v[4:7], v4, s[2:3] offset:16
	v_fmac_f32_e32 v44, v23, v16
	v_fmac_f32_e32 v46, v25, v18
	v_fmac_f32_e32 v48, v27, v12
	v_fmac_f32_e32 v52, v29, v14
	s_load_b128 s[4:7], s[4:5], 0x0
	global_wb scope:SCOPE_SE
	s_wait_loadcnt 0x0
	s_wait_kmcnt 0x0
	s_barrier_signal -1
	s_barrier_wait -1
	global_inv scope:SCOPE_SE
	v_mul_f32_e32 v27, v36, v9
	v_mul_f32_e32 v28, v40, v11
	v_dual_mul_f32 v24, v35, v5 :: v_dual_mul_f32 v25, v33, v7
	v_mul_f32_e32 v29, v34, v5
	v_mul_f32_e32 v23, v41, v11
	;; [unrolled: 1-line block ×3, first 2 shown]
	v_fmac_f32_e32 v27, v37, v8
	v_dual_sub_f32 v37, v46, v48 :: v_dual_fmac_f32 v28, v41, v10
	v_fma_f32 v24, v34, v4, -v24
	v_fmac_f32_e32 v29, v35, v4
	v_sub_f32_e32 v35, v51, v47
	v_dual_sub_f32 v34, v43, v45 :: v_dual_sub_f32 v41, v45, v43
	v_dual_sub_f32 v49, v47, v51 :: v_dual_add_f32 v50, v21, v44
	v_mul_f32_e32 v26, v32, v7
	v_fma_f32 v22, v36, v8, -v22
	v_fma_f32 v23, v40, v10, -v23
	s_delay_alu instid0(VALU_DEP_4)
	v_add_f32_e32 v65, v41, v49
	v_fma_f32 v25, v32, v6, -v25
	v_fmac_f32_e32 v26, v33, v6
	v_add_f32_e32 v32, v20, v43
	v_dual_add_f32 v33, v45, v47 :: v_dual_sub_f32 v36, v44, v52
	v_dual_add_f32 v40, v43, v51 :: v_dual_sub_f32 v57, v44, v46
	v_dual_sub_f32 v58, v52, v48 :: v_dual_add_f32 v63, v34, v35
	v_sub_f32_e32 v60, v46, v44
	v_dual_sub_f32 v61, v48, v52 :: v_dual_add_f32 v34, v50, v46
	v_add_f32_e32 v54, v46, v48
	v_dual_sub_f32 v56, v45, v47 :: v_dual_add_f32 v59, v44, v52
	v_fma_f32 v43, -0.5, v33, v20
	v_dual_add_f32 v35, v23, v24 :: v_dual_add_f32 v62, v32, v45
	v_sub_f32_e32 v41, v25, v24
	v_fma_f32 v45, -0.5, v40, v20
	v_fma_f32 v44, -0.5, v54, v21
	v_dual_add_f32 v54, v57, v58 :: v_dual_sub_f32 v33, v23, v24
	v_sub_f32_e32 v40, v22, v23
	v_add_f32_e32 v58, v28, v29
	v_fma_f32 v46, -0.5, v59, v21
	v_dual_sub_f32 v20, v27, v26 :: v_dual_sub_f32 v21, v28, v29
	v_add_f32_e32 v57, v60, v61
	v_add_f32_e32 v61, v62, v47
	v_dual_sub_f32 v32, v22, v25 :: v_dual_fmamk_f32 v47, v36, 0x3f737871, v43
	v_dual_sub_f32 v59, v27, v28 :: v_dual_sub_f32 v60, v26, v29
	v_fmamk_f32 v49, v37, 0xbf737871, v45
	v_fmac_f32_e32 v43, 0xbf737871, v36
	v_dual_fmac_f32 v45, 0x3f737871, v37 :: v_dual_add_f32 v62, v34, v48
	v_dual_fmamk_f32 v48, v55, 0xbf737871, v44 :: v_dual_add_f32 v41, v40, v41
	v_fma_f32 v35, -0.5, v35, v30
	v_fma_f32 v40, -0.5, v58, v31
	v_fmac_f32_e32 v44, 0x3f737871, v55
	v_dual_fmamk_f32 v50, v56, 0x3f737871, v46 :: v_dual_add_f32 v51, v61, v51
	v_fmac_f32_e32 v46, 0xbf737871, v56
	v_dual_add_f32 v34, v59, v60 :: v_dual_fmac_f32 v47, 0x3f167918, v37
	v_dual_fmac_f32 v43, 0xbf167918, v37 :: v_dual_add_f32 v52, v62, v52
	s_delay_alu instid0(VALU_DEP_3)
	v_dual_fmac_f32 v49, 0x3f167918, v36 :: v_dual_fmac_f32 v46, 0x3f167918, v55
	v_dual_fmac_f32 v45, 0xbf167918, v36 :: v_dual_fmac_f32 v50, 0xbf167918, v55
	v_fmamk_f32 v36, v20, 0xbf737871, v35
	v_fmamk_f32 v37, v32, 0x3f737871, v40
	v_fmac_f32_e32 v48, 0xbf167918, v56
	v_fmac_f32_e32 v44, 0x3f167918, v56
	;; [unrolled: 1-line block ×8, first 2 shown]
	s_delay_alu instid0(VALU_DEP_4)
	v_dual_fmac_f32 v36, 0x3e9e377a, v41 :: v_dual_fmac_f32 v37, 0x3e9e377a, v34
	v_fmac_f32_e32 v45, 0x3e9e377a, v65
	v_dual_fmac_f32 v46, 0x3e9e377a, v57 :: v_dual_fmac_f32 v43, 0x3e9e377a, v63
	v_fmac_f32_e32 v44, 0x3e9e377a, v54
	ds_store_2addr_b64 v77, v[51:52], v[47:48] offset1:13
	ds_store_2addr_b64 v77, v[49:50], v[45:46] offset0:26 offset1:39
	ds_store_b64 v77, v[43:44] offset:416
	s_and_saveexec_b32 s1, s0
	s_cbranch_execz .LBB0_11
; %bb.10:
	v_mul_f32_e32 v43, 0x3f737871, v32
	v_mul_f32_e32 v44, 0x3f737871, v20
	;; [unrolled: 1-line block ×3, first 2 shown]
	v_dual_mul_f32 v41, 0x3e9e377a, v41 :: v_dual_mul_f32 v34, 0x3e9e377a, v34
	s_delay_alu instid0(VALU_DEP_3) | instskip(SKIP_2) | instid1(VALU_DEP_3)
	v_dual_add_f32 v35, v35, v44 :: v_dual_add_f32 v44, v30, v22
	v_dual_mul_f32 v45, 0x3f167918, v21 :: v_dual_sub_f32 v40, v40, v43
	v_add_f32_e32 v43, v31, v27
	v_add_f32_e32 v44, v44, v23
	s_delay_alu instid0(VALU_DEP_3) | instskip(NEXT) | instid1(VALU_DEP_3)
	v_dual_add_f32 v45, v45, v35 :: v_dual_sub_f32 v40, v40, v46
	v_add_f32_e32 v43, v43, v28
	s_delay_alu instid0(VALU_DEP_2) | instskip(NEXT) | instid1(VALU_DEP_1)
	v_dual_add_f32 v46, v27, v26 :: v_dual_add_f32 v35, v34, v40
	v_dual_add_f32 v34, v41, v45 :: v_dual_fmac_f32 v31, -0.5, v46
	s_delay_alu instid0(VALU_DEP_3) | instskip(SKIP_2) | instid1(VALU_DEP_3)
	v_dual_add_f32 v40, v43, v29 :: v_dual_add_f32 v41, v44, v24
	v_dual_sub_f32 v43, v28, v27 :: v_dual_sub_f32 v44, v29, v26
	v_add_f32_e32 v45, v22, v25
	v_dual_add_f32 v29, v40, v26 :: v_dual_add_f32 v28, v41, v25
	v_sub_f32_e32 v22, v23, v22
	s_delay_alu instid0(VALU_DEP_4) | instskip(NEXT) | instid1(VALU_DEP_4)
	v_dual_add_f32 v40, v43, v44 :: v_dual_fmamk_f32 v27, v33, 0xbf737871, v31
	v_fmac_f32_e32 v30, -0.5, v45
	v_fmac_f32_e32 v31, 0x3f737871, v33
	s_delay_alu instid0(VALU_DEP_3) | instskip(NEXT) | instid1(VALU_DEP_3)
	v_fmac_f32_e32 v27, 0x3f167918, v32
	v_dual_fmamk_f32 v26, v21, 0x3f737871, v30 :: v_dual_sub_f32 v23, v24, v25
	v_mul_u32_u24_e32 v24, 0x41, v76
	s_delay_alu instid0(VALU_DEP_4) | instskip(NEXT) | instid1(VALU_DEP_3)
	v_fmac_f32_e32 v31, 0xbf167918, v32
	v_fmac_f32_e32 v26, 0xbf167918, v20
	s_delay_alu instid0(VALU_DEP_4) | instskip(NEXT) | instid1(VALU_DEP_4)
	v_dual_fmac_f32 v30, 0xbf737871, v21 :: v_dual_add_f32 v21, v22, v23
	v_dual_fmac_f32 v27, 0x3e9e377a, v40 :: v_dual_add_nc_u32 v22, v24, v75
	s_delay_alu instid0(VALU_DEP_2) | instskip(NEXT) | instid1(VALU_DEP_3)
	v_fmac_f32_e32 v30, 0x3f167918, v20
	v_fmac_f32_e32 v26, 0x3e9e377a, v21
	s_delay_alu instid0(VALU_DEP_3) | instskip(NEXT) | instid1(VALU_DEP_3)
	v_add_lshl_u32 v20, v42, v22, 3
	v_dual_fmac_f32 v31, 0x3e9e377a, v40 :: v_dual_fmac_f32 v30, 0x3e9e377a, v21
	ds_store_2addr_b64 v20, v[28:29], v[34:35] offset1:13
	ds_store_2addr_b64 v20, v[30:31], v[26:27] offset0:26 offset1:39
	ds_store_b64 v20, v[36:37] offset:416
.LBB0_11:
	s_wait_alu 0xfffe
	s_or_b32 exec_lo, exec_lo, s1
	v_lshlrev_b32_e32 v20, 6, v70
	global_wb scope:SCOPE_SE
	s_wait_dscnt 0x0
	s_barrier_signal -1
	s_barrier_wait -1
	global_inv scope:SCOPE_SE
	s_clause 0x3
	global_load_b128 v[32:35], v20, s[2:3] offset:416
	global_load_b128 v[28:31], v20, s[2:3] offset:432
	;; [unrolled: 1-line block ×4, first 2 shown]
	ds_load_2addr_b64 v[40:43], v72 offset0:65 offset1:130
	v_add_nc_u32_e32 v44, 0x400, v72
	v_add_nc_u32_e32 v48, 0x800, v72
	v_lshl_add_u32 v73, v70, 3, v71
	s_wait_loadcnt_dscnt 0x300
	v_mul_f32_e32 v65, v42, v35
	v_mul_f32_e32 v63, v43, v35
	ds_load_2addr_b64 v[44:47], v44 offset0:67 offset1:132
	ds_load_2addr_b64 v[48:51], v48 offset0:69 offset1:134
	v_add_nc_u32_e32 v52, 0xc00, v72
	v_add_nc_u32_e32 v57, 0x800, v73
	v_mul_f32_e32 v61, v41, v33
	v_dual_mul_f32 v62, v40, v33 :: v_dual_fmac_f32 v65, v43, v34
	v_add_nc_u32_e32 v56, 0x400, v73
	s_delay_alu instid0(VALU_DEP_3)
	v_fma_f32 v40, v40, v32, -v61
	s_wait_loadcnt_dscnt 0x201
	v_mul_f32_e32 v67, v44, v29
	s_wait_loadcnt_dscnt 0x100
	v_mul_f32_e32 v81, v51, v27
	ds_load_2addr_b64 v[52:55], v52 offset0:71 offset1:136
	ds_load_b64 v[59:60], v72
	v_mul_f32_e32 v80, v48, v25
	v_dual_mul_f32 v82, v50, v27 :: v_dual_fmac_f32 v67, v45, v28
	v_add_nc_u32_e32 v58, 0xc00, v73
	v_mul_f32_e32 v68, v47, v31
	s_delay_alu instid0(VALU_DEP_4) | instskip(SKIP_1) | instid1(VALU_DEP_3)
	v_fmac_f32_e32 v80, v49, v24
	v_dual_mul_f32 v78, v46, v31 :: v_dual_mul_f32 v79, v49, v25
	v_fma_f32 v43, v46, v30, -v68
	s_wait_loadcnt_dscnt 0x1
	v_dual_mul_f32 v83, v53, v21 :: v_dual_fmac_f32 v82, v51, v26
	v_dual_mul_f32 v84, v52, v21 :: v_dual_mul_f32 v85, v55, v23
	v_fmac_f32_e32 v62, v41, v32
	v_fma_f32 v41, v42, v34, -v63
	v_fmac_f32_e32 v78, v47, v30
	s_delay_alu instid0(VALU_DEP_4) | instskip(SKIP_4) | instid1(VALU_DEP_4)
	v_fmac_f32_e32 v84, v53, v20
	v_mul_f32_e32 v86, v54, v23
	v_fma_f32 v46, v54, v22, -v85
	v_fma_f32 v47, v52, v20, -v83
	v_add_f32_e32 v53, v67, v82
	v_dual_add_f32 v51, v65, v84 :: v_dual_fmac_f32 v86, v55, v22
	v_sub_f32_e32 v55, v65, v84
	v_mul_f32_e32 v66, v45, v29
	v_fma_f32 v45, v50, v26, -v81
	s_delay_alu instid0(VALU_DEP_4) | instskip(NEXT) | instid1(VALU_DEP_3)
	v_add_f32_e32 v49, v62, v86
	v_fma_f32 v42, v44, v28, -v66
	v_fma_f32 v44, v48, v24, -v79
	v_add_f32_e32 v48, v40, v46
	v_sub_f32_e32 v46, v40, v46
	v_add_f32_e32 v50, v41, v47
	s_wait_dscnt 0x0
	v_dual_add_f32 v52, v42, v45 :: v_dual_fmamk_f32 v81, v49, 0x3f441b7d, v60
	v_dual_sub_f32 v47, v41, v47 :: v_dual_sub_f32 v42, v42, v45
	v_sub_f32_e32 v45, v67, v82
	v_dual_sub_f32 v54, v62, v86 :: v_dual_add_f32 v41, v53, v60
	v_sub_f32_e32 v61, v43, v44
	v_add_f32_e32 v63, v43, v44
	v_mul_f32_e32 v67, 0x3f248dbb, v46
	v_add_f32_e32 v65, v78, v80
	s_delay_alu instid0(VALU_DEP_4) | instskip(SKIP_1) | instid1(VALU_DEP_3)
	v_dual_sub_f32 v62, v78, v80 :: v_dual_mul_f32 v89, 0x3f7c1c5c, v61
	v_dual_mul_f32 v68, 0x3f248dbb, v54 :: v_dual_add_f32 v87, v50, v48
	v_dual_fmamk_f32 v84, v63, 0x3f441b7d, v59 :: v_dual_fmamk_f32 v85, v65, 0x3f441b7d, v60
	v_dual_add_f32 v66, v61, v46 :: v_dual_fmamk_f32 v91, v50, 0x3f441b7d, v59
	v_dual_add_f32 v88, v51, v49 :: v_dual_fmac_f32 v81, 0x3e31d0d4, v51
	v_mul_f32_e32 v82, 0xbf248dbb, v61
	v_fmamk_f32 v79, v48, 0x3f441b7d, v59
	v_mul_f32_e32 v83, 0xbf248dbb, v62
	s_delay_alu instid0(VALU_DEP_4) | instskip(SKIP_1) | instid1(VALU_DEP_4)
	v_dual_add_f32 v93, v65, v88 :: v_dual_add_f32 v86, v62, v54
	v_fmac_f32_e32 v67, 0x3f7c1c5c, v47
	v_dual_add_f32 v40, v52, v59 :: v_dual_fmac_f32 v79, 0x3e31d0d4, v50
	v_dual_fmac_f32 v82, 0x3f7c1c5c, v46 :: v_dual_fmac_f32 v81, -0.5, v53
	v_dual_fmac_f32 v85, 0x3e31d0d4, v49 :: v_dual_sub_f32 v92, v66, v47
	s_delay_alu instid0(VALU_DEP_4) | instskip(SKIP_1) | instid1(VALU_DEP_3)
	v_dual_fmac_f32 v67, 0x3f5db3d7, v42 :: v_dual_add_f32 v66, v63, v87
	v_fma_f32 v89, 0xbf248dbb, v47, -v89
	v_fmac_f32_e32 v85, -0.5, v53
	v_dual_add_f32 v87, v52, v87 :: v_dual_fmac_f32 v84, 0x3e31d0d4, v48
	v_dual_add_f32 v88, v53, v88 :: v_dual_fmac_f32 v91, 0x3e31d0d4, v63
	v_dual_fmac_f32 v82, 0xbf5db3d7, v42 :: v_dual_fmac_f32 v41, -0.5, v93
	s_delay_alu instid0(VALU_DEP_3)
	v_dual_fmac_f32 v84, -0.5, v52 :: v_dual_fmac_f32 v89, 0x3f5db3d7, v42
	v_fmac_f32_e32 v40, -0.5, v66
	v_dual_add_f32 v42, v43, v87 :: v_dual_fmac_f32 v67, 0x3eaf1d44, v61
	v_dual_add_f32 v43, v78, v88 :: v_dual_mul_f32 v90, 0x3f7c1c5c, v62
	v_dual_fmac_f32 v79, -0.5, v52 :: v_dual_fmac_f32 v68, 0x3f7c1c5c, v55
	v_fmac_f32_e32 v83, 0x3f7c1c5c, v54
	s_delay_alu instid0(VALU_DEP_3) | instskip(SKIP_2) | instid1(VALU_DEP_4)
	v_dual_mul_f32 v94, 0x3f5db3d7, v92 :: v_dual_add_f32 v43, v80, v43
	v_sub_f32_e32 v86, v86, v55
	v_fma_f32 v90, 0xbf248dbb, v55, -v90
	v_fmac_f32_e32 v83, 0xbf5db3d7, v45
	v_fmac_f32_e32 v68, 0x3f5db3d7, v45
	v_dual_fmac_f32 v81, 0xbf708fb2, v65 :: v_dual_add_f32 v66, v43, v60
	v_dual_fmac_f32 v82, 0x3eaf1d44, v47 :: v_dual_fmac_f32 v89, 0x3eaf1d44, v46
	v_dual_fmac_f32 v85, 0xbf708fb2, v51 :: v_dual_add_f32 v42, v44, v42
	v_fmac_f32_e32 v60, 0x3f441b7d, v51
	v_dual_mul_f32 v95, 0x3f5db3d7, v86 :: v_dual_fmac_f32 v90, 0x3f5db3d7, v45
	v_dual_fmac_f32 v91, -0.5, v52 :: v_dual_fmac_f32 v68, 0x3eaf1d44, v62
	v_fmac_f32_e32 v83, 0x3eaf1d44, v55
	s_delay_alu instid0(VALU_DEP_4) | instskip(SKIP_1) | instid1(VALU_DEP_4)
	v_dual_sub_f32 v55, v85, v82 :: v_dual_fmac_f32 v60, 0x3e31d0d4, v65
	v_add_f32_e32 v65, v42, v59
	v_fmac_f32_e32 v91, 0xbf708fb2, v48
	v_dual_fmac_f32 v79, 0xbf708fb2, v63 :: v_dual_fmac_f32 v84, 0xbf708fb2, v50
	s_delay_alu instid0(VALU_DEP_4) | instskip(SKIP_1) | instid1(VALU_DEP_3)
	v_fmac_f32_e32 v60, -0.5, v53
	v_dual_fmac_f32 v40, 0x3f5db3d7, v86 :: v_dual_sub_f32 v53, v81, v67
	v_dual_fmac_f32 v41, 0xbf5db3d7, v92 :: v_dual_add_f32 v52, v68, v79
	s_delay_alu instid0(VALU_DEP_3) | instskip(SKIP_4) | instid1(VALU_DEP_4)
	v_fmac_f32_e32 v60, 0xbf708fb2, v49
	v_fmac_f32_e32 v90, 0x3eaf1d44, v54
	v_add_f32_e32 v54, v83, v84
	v_fma_f32 v50, -2.0, v95, v40
	v_fma_f32 v51, 2.0, v94, v41
	v_dual_sub_f32 v43, v60, v89 :: v_dual_add_f32 v42, v90, v91
	v_fma_f32 v46, -2.0, v68, v52
	v_fma_f32 v47, 2.0, v67, v53
	v_fma_f32 v44, -2.0, v83, v54
	v_fma_f32 v45, 2.0, v82, v55
	;; [unrolled: 2-line block ×3, first 2 shown]
	ds_store_b64 v73, v[65:66]
	ds_store_2addr_b64 v73, v[52:53], v[54:55] offset0:65 offset1:130
	ds_store_2addr_b64 v58, v[44:45], v[46:47] offset0:71 offset1:136
	;; [unrolled: 1-line block ×4, first 2 shown]
	global_wb scope:SCOPE_SE
	s_wait_dscnt 0x0
	s_barrier_signal -1
	s_barrier_wait -1
	global_inv scope:SCOPE_SE
	s_and_saveexec_b32 s1, vcc_lo
	s_cbranch_execz .LBB0_13
; %bb.12:
	global_load_b64 v[59:60], v69, s[8:9] offset:4680
	s_add_nc_u64 s[2:3], s[8:9], 0x1248
	s_clause 0xb
	global_load_b64 v[67:68], v69, s[2:3] offset:360
	global_load_b64 v[98:99], v69, s[2:3] offset:720
	;; [unrolled: 1-line block ×12, first 2 shown]
	ds_load_b64 v[61:62], v73
	s_wait_loadcnt_dscnt 0xc00
	v_mul_f32_e32 v63, v62, v60
	v_mul_f32_e32 v79, v61, v60
	s_delay_alu instid0(VALU_DEP_2) | instskip(NEXT) | instid1(VALU_DEP_2)
	v_fma_f32 v78, v61, v59, -v63
	v_fmac_f32_e32 v79, v62, v59
	ds_store_b64 v73, v[78:79]
	ds_load_2addr_b64 v[59:62], v73 offset0:45 offset1:90
	ds_load_2addr_b64 v[78:81], v73 offset0:135 offset1:180
	;; [unrolled: 1-line block ×6, first 2 shown]
	s_wait_loadcnt_dscnt 0xb05
	v_mul_f32_e32 v120, v59, v68
	s_wait_loadcnt_dscnt 0x804
	v_dual_mul_f32 v121, v60, v68 :: v_dual_mul_f32 v124, v81, v103
	v_mul_f32_e32 v122, v62, v99
	v_dual_mul_f32 v68, v61, v99 :: v_dual_mul_f32 v123, v79, v101
	s_wait_loadcnt_dscnt 0x603
	v_dual_mul_f32 v126, v85, v107 :: v_dual_mul_f32 v63, v78, v101
	s_wait_loadcnt_dscnt 0x402
	v_mul_f32_e32 v128, v89, v111
	v_dual_mul_f32 v99, v80, v103 :: v_dual_fmac_f32 v68, v62, v98
	s_wait_loadcnt_dscnt 0x201
	v_dual_mul_f32 v125, v83, v105 :: v_dual_mul_f32 v130, v93, v115
	v_dual_mul_f32 v101, v82, v105 :: v_dual_fmac_f32 v120, v60, v67
	v_mul_f32_e32 v103, v84, v107
	v_mul_f32_e32 v127, v87, v109
	;; [unrolled: 1-line block ×7, first 2 shown]
	s_wait_loadcnt_dscnt 0x100
	v_mul_f32_e32 v131, v95, v117
	v_mul_f32_e32 v113, v94, v117
	s_wait_loadcnt 0x0
	v_mul_f32_e32 v117, v97, v119
	v_mul_f32_e32 v115, v96, v119
	v_fma_f32 v119, v59, v67, -v121
	v_fma_f32 v67, v61, v98, -v122
	;; [unrolled: 1-line block ×3, first 2 shown]
	v_fmac_f32_e32 v63, v79, v100
	v_fma_f32 v98, v80, v102, -v124
	v_fmac_f32_e32 v99, v81, v102
	v_fma_f32 v100, v82, v104, -v125
	;; [unrolled: 2-line block ×9, first 2 shown]
	v_fmac_f32_e32 v115, v97, v118
	ds_store_2addr_b64 v73, v[119:120], v[67:68] offset0:45 offset1:90
	ds_store_2addr_b64 v73, v[62:63], v[98:99] offset0:135 offset1:180
	;; [unrolled: 1-line block ×6, first 2 shown]
.LBB0_13:
	s_wait_alu 0xfffe
	s_or_b32 exec_lo, exec_lo, s1
	global_wb scope:SCOPE_SE
	s_wait_dscnt 0x0
	s_barrier_signal -1
	s_barrier_wait -1
	global_inv scope:SCOPE_SE
	s_and_saveexec_b32 s1, vcc_lo
	s_cbranch_execz .LBB0_15
; %bb.14:
	v_add_nc_u32_e32 v44, 0x800, v73
	v_add_nc_u32_e32 v0, 0xc00, v73
	;; [unrolled: 1-line block ×3, first 2 shown]
	ds_load_2addr_b64 v[36:39], v44 offset0:149 offset1:194
	ds_load_2addr_b64 v[0:3], v0 offset0:111 offset1:156
	ds_load_b64 v[65:66], v73
	ds_load_2addr_b64 v[52:55], v73 offset0:45 offset1:90
	ds_load_2addr_b64 v[40:43], v73 offset0:135 offset1:180
	;; [unrolled: 1-line block ×4, first 2 shown]
.LBB0_15:
	s_wait_alu 0xfffe
	s_or_b32 exec_lo, exec_lo, s1
	s_wait_dscnt 0x3
	v_dual_sub_f32 v86, v53, v3 :: v_dual_sub_f32 v79, v52, v2
	v_add_f32_e32 v90, v3, v53
	v_dual_sub_f32 v88, v55, v1 :: v_dual_sub_f32 v81, v54, v0
	s_delay_alu instid0(VALU_DEP_3) | instskip(NEXT) | instid1(VALU_DEP_3)
	v_dual_mul_f32 v61, 0xbe750f2a, v86 :: v_dual_add_f32 v78, v2, v52
	v_mul_f32_e32 v57, 0xbf3f9e67, v90
	v_mul_f32_e32 v102, 0xbeb58ec6, v90
	;; [unrolled: 1-line block ×4, first 2 shown]
	v_add_f32_e32 v80, v0, v54
	v_dual_mul_f32 v62, 0xbf788fa5, v90 :: v_dual_fmamk_f32 v67, v78, 0xbf788fa5, v61
	v_fmamk_f32 v59, v79, 0xbf6f5d39, v102
	v_fma_f32 v58, 0xbeb58ec6, v78, -v100
	v_fmamk_f32 v63, v79, 0x3f29c268, v57
	v_fmac_f32_e32 v57, 0xbf29c268, v79
	v_dual_fmamk_f32 v60, v78, 0xbf3f9e67, v56 :: v_dual_add_f32 v67, v65, v67
	v_dual_add_f32 v59, v66, v59 :: v_dual_mul_f32 v104, 0x3f29c268, v88
	v_add_f32_e32 v58, v65, v58
	s_delay_alu instid0(VALU_DEP_3) | instskip(SKIP_1) | instid1(VALU_DEP_4)
	v_dual_add_f32 v60, v65, v60 :: v_dual_add_f32 v63, v66, v63
	v_fma_f32 v56, 0xbf3f9e67, v78, -v56
	v_fma_f32 v83, 0xbf3f9e67, v80, -v104
	v_mul_f32_e32 v82, 0x3f7e222b, v88
	v_dual_fmamk_f32 v68, v79, 0x3e750f2a, v62 :: v_dual_add_f32 v57, v66, v57
	v_fma_f32 v61, 0xbf788fa5, v78, -v61
	s_delay_alu instid0(VALU_DEP_4) | instskip(NEXT) | instid1(VALU_DEP_4)
	v_dual_add_f32 v58, v83, v58 :: v_dual_mul_f32 v83, 0x3eedf032, v88
	v_dual_add_f32 v94, v1, v55 :: v_dual_fmamk_f32 v85, v80, 0x3df6dbef, v82
	v_add_f32_e32 v56, v65, v56
	s_delay_alu instid0(VALU_DEP_4) | instskip(NEXT) | instid1(VALU_DEP_3)
	v_dual_add_f32 v68, v66, v68 :: v_dual_add_f32 v61, v65, v61
	v_mul_f32_e32 v105, 0xbf3f9e67, v94
	s_delay_alu instid0(VALU_DEP_4) | instskip(SKIP_2) | instid1(VALU_DEP_3)
	v_dual_mul_f32 v87, 0x3df6dbef, v94 :: v_dual_add_f32 v60, v85, v60
	s_wait_dscnt 0x2
	v_dual_sub_f32 v93, v41, v39 :: v_dual_add_f32 v96, v39, v41
	v_fmamk_f32 v84, v81, 0x3f29c268, v105
	global_wb scope:SCOPE_SE
	s_wait_dscnt 0x0
	v_fmamk_f32 v89, v80, 0x3f62ad3f, v83
	s_barrier_signal -1
	s_barrier_wait -1
	v_dual_add_f32 v59, v84, v59 :: v_dual_fmamk_f32 v84, v81, 0xbf7e222b, v87
	v_fmac_f32_e32 v87, 0x3f7e222b, v81
	v_fmac_f32_e32 v62, 0xbe750f2a, v79
	v_fma_f32 v82, 0x3df6dbef, v80, -v82
	v_mul_f32_e32 v85, 0x3f62ad3f, v94
	v_add_f32_e32 v63, v84, v63
	s_delay_alu instid0(VALU_DEP_4) | instskip(NEXT) | instid1(VALU_DEP_4)
	v_dual_add_f32 v57, v87, v57 :: v_dual_add_f32 v62, v66, v62
	v_dual_add_f32 v56, v82, v56 :: v_dual_add_f32 v67, v89, v67
	s_delay_alu instid0(VALU_DEP_4) | instskip(SKIP_3) | instid1(VALU_DEP_4)
	v_fmamk_f32 v84, v81, 0xbeedf032, v85
	v_fmac_f32_e32 v85, 0x3eedf032, v81
	v_mul_f32_e32 v107, 0x3f62ad3f, v96
	v_dual_add_f32 v82, v38, v40 :: v_dual_mul_f32 v87, 0xbf52af12, v93
	v_add_f32_e32 v68, v84, v68
	v_fma_f32 v84, 0x3f62ad3f, v80, -v83
	v_sub_f32_e32 v83, v40, v38
	s_delay_alu instid0(VALU_DEP_4) | instskip(SKIP_1) | instid1(VALU_DEP_3)
	v_dual_add_f32 v62, v85, v62 :: v_dual_fmamk_f32 v91, v82, 0x3f116cb1, v87
	v_mul_f32_e32 v85, 0x3f116cb1, v96
	v_dual_add_f32 v61, v84, v61 :: v_dual_fmamk_f32 v84, v83, 0x3eedf032, v107
	v_mul_f32_e32 v106, 0x3eedf032, v93
	v_fma_f32 v87, 0x3f116cb1, v82, -v87
	v_add_f32_e32 v97, v37, v43
	global_inv scope:SCOPE_SE
	v_add_f32_e32 v59, v84, v59
	v_fma_f32 v89, 0x3f62ad3f, v82, -v106
	v_mul_f32_e32 v84, 0xbf29c268, v93
	v_add_f32_e32 v56, v87, v56
	s_delay_alu instid0(VALU_DEP_3) | instskip(NEXT) | instid1(VALU_DEP_3)
	v_dual_add_f32 v58, v89, v58 :: v_dual_mul_f32 v89, 0xbf3f9e67, v96
	v_fmamk_f32 v92, v82, 0xbf3f9e67, v84
	v_fma_f32 v87, 0xbf3f9e67, v82, -v84
	v_add_f32_e32 v84, v36, v42
	v_add_f32_e32 v60, v91, v60
	v_fmamk_f32 v95, v83, 0x3f29c268, v89
	v_fmac_f32_e32 v89, 0xbf29c268, v83
	v_fmamk_f32 v91, v83, 0x3f52af12, v85
	v_fmac_f32_e32 v85, 0xbf52af12, v83
	v_mul_f32_e32 v109, 0x3df6dbef, v97
	v_dual_add_f32 v67, v92, v67 :: v_dual_add_f32 v68, v95, v68
	v_add_f32_e32 v62, v89, v62
	s_delay_alu instid0(VALU_DEP_4)
	v_add_f32_e32 v57, v85, v57
	v_sub_f32_e32 v85, v42, v36
	v_sub_f32_e32 v95, v43, v37
	v_mul_f32_e32 v89, 0xbf788fa5, v97
	v_add_f32_e32 v63, v91, v63
	v_mul_f32_e32 v101, 0x3f116cb1, v97
	v_fmamk_f32 v92, v85, 0xbf7e222b, v109
	v_mul_f32_e32 v108, 0xbf7e222b, v95
	s_delay_alu instid0(VALU_DEP_2) | instskip(NEXT) | instid1(VALU_DEP_1)
	v_dual_add_f32 v59, v92, v59 :: v_dual_fmamk_f32 v92, v85, 0xbe750f2a, v89
	v_dual_add_f32 v63, v92, v63 :: v_dual_fmamk_f32 v92, v85, 0xbf52af12, v101
	s_delay_alu instid0(VALU_DEP_1) | instskip(NEXT) | instid1(VALU_DEP_1)
	v_dual_mul_f32 v91, 0x3e750f2a, v95 :: v_dual_add_f32 v68, v92, v68
	v_dual_add_f32 v61, v87, v61 :: v_dual_fmamk_f32 v98, v84, 0xbf788fa5, v91
	v_fma_f32 v87, 0x3df6dbef, v84, -v108
	v_fmac_f32_e32 v101, 0x3f52af12, v85
	v_fma_f32 v91, 0xbf788fa5, v84, -v91
	s_delay_alu instid0(VALU_DEP_4) | instskip(NEXT) | instid1(VALU_DEP_4)
	v_add_f32_e32 v60, v98, v60
	v_dual_add_f32 v58, v87, v58 :: v_dual_mul_f32 v87, 0x3f52af12, v95
	s_delay_alu instid0(VALU_DEP_4) | instskip(NEXT) | instid1(VALU_DEP_4)
	v_add_f32_e32 v62, v101, v62
	v_add_f32_e32 v56, v91, v56
	s_delay_alu instid0(VALU_DEP_3) | instskip(SKIP_2) | instid1(VALU_DEP_3)
	v_fmamk_f32 v98, v84, 0x3f116cb1, v87
	v_fma_f32 v91, 0x3f116cb1, v84, -v87
	v_add_f32_e32 v87, v46, v48
	v_add_f32_e32 v67, v98, v67
	v_dual_sub_f32 v98, v49, v47 :: v_dual_fmac_f32 v89, 0x3e750f2a, v85
	s_delay_alu instid0(VALU_DEP_1) | instskip(NEXT) | instid1(VALU_DEP_2)
	v_dual_add_f32 v61, v91, v61 :: v_dual_mul_f32 v110, 0x3e750f2a, v98
	v_dual_add_f32 v57, v89, v57 :: v_dual_mul_f32 v92, 0x3eedf032, v98
	s_delay_alu instid0(VALU_DEP_2) | instskip(NEXT) | instid1(VALU_DEP_1)
	v_fma_f32 v103, 0xbf788fa5, v87, -v110
	v_add_f32_e32 v58, v103, v58
	s_delay_alu instid0(VALU_DEP_3) | instskip(SKIP_2) | instid1(VALU_DEP_3)
	v_fmamk_f32 v112, v87, 0x3f62ad3f, v92
	v_add_f32_e32 v99, v47, v49
	v_fma_f32 v92, 0x3f62ad3f, v87, -v92
	v_add_f32_e32 v60, v112, v60
	s_delay_alu instid0(VALU_DEP_3) | instskip(SKIP_1) | instid1(VALU_DEP_4)
	v_dual_sub_f32 v89, v48, v46 :: v_dual_mul_f32 v114, 0xbeb58ec6, v99
	v_mul_f32_e32 v101, 0x3f62ad3f, v99
	v_dual_mul_f32 v111, 0xbf788fa5, v99 :: v_dual_add_f32 v56, v92, v56
	s_delay_alu instid0(VALU_DEP_3) | instskip(NEXT) | instid1(VALU_DEP_3)
	v_dual_sub_f32 v92, v50, v44 :: v_dual_fmamk_f32 v113, v89, 0x3f6f5d39, v114
	v_fmamk_f32 v103, v89, 0xbeedf032, v101
	v_fmac_f32_e32 v101, 0x3eedf032, v89
	v_fmac_f32_e32 v114, 0xbf6f5d39, v89
	v_fmamk_f32 v91, v89, 0x3e750f2a, v111
	s_delay_alu instid0(VALU_DEP_4) | instskip(NEXT) | instid1(VALU_DEP_4)
	v_dual_add_f32 v116, v113, v68 :: v_dual_add_f32 v63, v103, v63
	v_add_f32_e32 v57, v101, v57
	s_delay_alu instid0(VALU_DEP_4) | instskip(NEXT) | instid1(VALU_DEP_4)
	v_dual_sub_f32 v101, v51, v45 :: v_dual_add_f32 v114, v114, v62
	v_add_f32_e32 v59, v91, v59
	v_mul_f32_e32 v91, 0xbf6f5d39, v98
	s_delay_alu instid0(VALU_DEP_1) | instskip(NEXT) | instid1(VALU_DEP_1)
	v_dual_add_f32 v103, v45, v51 :: v_dual_fmamk_f32 v112, v87, 0xbeb58ec6, v91
	v_mul_f32_e32 v113, 0x3f116cb1, v103
	v_mul_f32_e32 v118, 0xbeb58ec6, v103
	;; [unrolled: 1-line block ×3, first 2 shown]
	s_delay_alu instid0(VALU_DEP_4) | instskip(NEXT) | instid1(VALU_DEP_4)
	v_add_f32_e32 v115, v112, v67
	v_fmamk_f32 v68, v92, 0x3f52af12, v113
	s_delay_alu instid0(VALU_DEP_1) | instskip(SKIP_2) | instid1(VALU_DEP_2)
	v_dual_mul_f32 v112, 0x3f52af12, v101 :: v_dual_add_f32 v59, v68, v59
	v_fmamk_f32 v68, v92, 0x3f6f5d39, v118
	v_fmac_f32_e32 v118, 0xbf6f5d39, v92
	v_add_f32_e32 v68, v68, v63
	v_fma_f32 v67, 0xbeb58ec6, v87, -v91
	v_add_f32_e32 v91, v44, v50
	s_delay_alu instid0(VALU_DEP_4) | instskip(NEXT) | instid1(VALU_DEP_3)
	v_add_f32_e32 v57, v118, v57
	v_add_f32_e32 v117, v67, v61
	v_mul_f32_e32 v61, 0xbf6f5d39, v101
	s_delay_alu instid0(VALU_DEP_4) | instskip(NEXT) | instid1(VALU_DEP_2)
	v_fma_f32 v67, 0x3f116cb1, v91, -v112
	v_fmamk_f32 v62, v91, 0xbeb58ec6, v61
	s_delay_alu instid0(VALU_DEP_1) | instskip(SKIP_3) | instid1(VALU_DEP_3)
	v_dual_add_f32 v58, v67, v58 :: v_dual_add_f32 v67, v62, v60
	v_mul_f32_e32 v60, 0x3f7e222b, v101
	v_fma_f32 v61, 0xbeb58ec6, v91, -v61
	v_fmamk_f32 v62, v92, 0xbf7e222b, v119
	v_fma_f32 v63, 0x3df6dbef, v91, -v60
	s_delay_alu instid0(VALU_DEP_3) | instskip(NEXT) | instid1(VALU_DEP_1)
	v_dual_add_f32 v56, v61, v56 :: v_dual_fmamk_f32 v61, v91, 0x3df6dbef, v60
	v_dual_fmac_f32 v119, 0x3f7e222b, v92 :: v_dual_add_f32 v60, v61, v115
	s_delay_alu instid0(VALU_DEP_3) | instskip(NEXT) | instid1(VALU_DEP_2)
	v_dual_add_f32 v61, v62, v116 :: v_dual_add_f32 v62, v63, v117
	v_add_f32_e32 v63, v119, v114
	s_and_saveexec_b32 s1, vcc_lo
	s_cbranch_execz .LBB0_17
; %bb.16:
	v_mul_f32_e32 v117, 0x3f29c268, v81
	v_dual_mul_f32 v114, 0xbf6f5d39, v79 :: v_dual_mul_f32 v127, 0xbf6f5d39, v88
	v_add_f32_e32 v52, v52, v65
	v_mul_f32_e32 v126, 0xbf3f9e67, v97
	s_delay_alu instid0(VALU_DEP_3) | instskip(SKIP_1) | instid1(VALU_DEP_4)
	v_dual_sub_f32 v105, v105, v117 :: v_dual_sub_f32 v102, v102, v114
	v_dual_mul_f32 v119, 0x3df6dbef, v84 :: v_dual_mul_f32 v128, 0x3df6dbef, v99
	v_dual_add_f32 v52, v54, v52 :: v_dual_add_f32 v53, v53, v66
	s_delay_alu instid0(VALU_DEP_3)
	v_add_f32_e32 v102, v66, v102
	v_mul_f32_e32 v120, 0xbf7e222b, v85
	v_mul_f32_e32 v121, 0x3e750f2a, v89
	;; [unrolled: 1-line block ×3, first 2 shown]
	v_add_f32_e32 v40, v40, v52
	v_add_f32_e32 v102, v105, v102
	v_dual_sub_f32 v105, v109, v120 :: v_dual_mul_f32 v114, 0x3eedf032, v83
	v_dual_sub_f32 v109, v111, v121 :: v_dual_mul_f32 v116, 0xbf3f9e67, v80
	v_mul_f32_e32 v52, 0xbf52af12, v88
	s_delay_alu instid0(VALU_DEP_3) | instskip(NEXT) | instid1(VALU_DEP_3)
	v_dual_add_f32 v40, v42, v40 :: v_dual_sub_f32 v107, v107, v114
	v_dual_mul_f32 v115, 0xbeb58ec6, v78 :: v_dual_add_f32 v104, v116, v104
	v_mul_f32_e32 v117, 0xbf788fa5, v87
	v_mul_f32_e32 v116, 0x3f116cb1, v99
	s_delay_alu instid0(VALU_DEP_4) | instskip(NEXT) | instid1(VALU_DEP_4)
	v_dual_add_f32 v102, v107, v102 :: v_dual_mul_f32 v107, 0x3f52af12, v92
	v_add_f32_e32 v100, v115, v100
	v_mul_f32_e32 v114, 0x3f116cb1, v91
	v_mul_f32_e32 v111, 0x3df6dbef, v90
	s_delay_alu instid0(VALU_DEP_4) | instskip(NEXT) | instid1(VALU_DEP_4)
	v_dual_add_f32 v102, v105, v102 :: v_dual_mul_f32 v115, 0xbe750f2a, v88
	v_add_f32_e32 v100, v65, v100
	v_dual_add_f32 v105, v119, v108 :: v_dual_mul_f32 v120, 0x3f116cb1, v90
	s_delay_alu instid0(VALU_DEP_3) | instskip(NEXT) | instid1(VALU_DEP_3)
	v_dual_add_f32 v102, v109, v102 :: v_dual_fmamk_f32 v109, v80, 0xbeb58ec6, v127
	v_add_f32_e32 v100, v104, v100
	v_sub_f32_e32 v104, v113, v107
	v_dual_add_f32 v107, v117, v110 :: v_dual_mul_f32 v110, 0xbeb58ec6, v96
	v_add_f32_e32 v106, v118, v106
	v_mul_f32_e32 v113, 0xbf788fa5, v94
	v_mul_f32_e32 v117, 0x3f6f5d39, v93
	;; [unrolled: 1-line block ×3, first 2 shown]
	s_delay_alu instid0(VALU_DEP_4) | instskip(SKIP_3) | instid1(VALU_DEP_4)
	v_dual_mul_f32 v119, 0x3eedf032, v95 :: v_dual_add_f32 v100, v106, v100
	v_fmamk_f32 v106, v79, 0x3f7e222b, v111
	v_add_f32_e32 v53, v55, v53
	v_mul_f32_e32 v121, 0xbf52af12, v98
	v_dual_mul_f32 v123, 0xbf29c268, v101 :: v_dual_add_f32 v100, v105, v100
	v_add_f32_e32 v105, v104, v102
	v_add_f32_e32 v102, v66, v106
	v_fmamk_f32 v104, v81, 0x3e750f2a, v113
	v_add_f32_e32 v106, v114, v112
	v_add_f32_e32 v100, v107, v100
	v_mul_f32_e32 v112, 0xbf7e222b, v86
	s_delay_alu instid0(VALU_DEP_4)
	v_dual_fmamk_f32 v107, v83, 0xbf6f5d39, v110 :: v_dual_add_f32 v102, v104, v102
	v_mul_f32_e32 v129, 0xbe750f2a, v93
	v_mul_f32_e32 v114, 0x3f62ad3f, v97
	v_dual_add_f32 v104, v106, v100 :: v_dual_mul_f32 v125, 0xbf52af12, v86
	v_dual_fmamk_f32 v100, v78, 0x3df6dbef, v112 :: v_dual_add_f32 v41, v41, v53
	v_add_f32_e32 v102, v107, v102
	s_delay_alu instid0(VALU_DEP_4) | instskip(NEXT) | instid1(VALU_DEP_3)
	v_fmamk_f32 v106, v85, 0xbeedf032, v114
	v_dual_fmamk_f32 v107, v80, 0xbf788fa5, v115 :: v_dual_add_f32 v100, v65, v100
	v_mul_f32_e32 v131, 0x3f29c268, v95
	s_delay_alu instid0(VALU_DEP_3) | instskip(SKIP_2) | instid1(VALU_DEP_3)
	v_dual_add_f32 v41, v43, v41 :: v_dual_add_f32 v102, v106, v102
	v_mul_f32_e32 v97, 0xbeb58ec6, v97
	v_fmamk_f32 v106, v89, 0x3f52af12, v116
	v_dual_mul_f32 v118, 0xbf3f9e67, v103 :: v_dual_add_f32 v41, v49, v41
	v_dual_add_f32 v100, v107, v100 :: v_dual_mul_f32 v99, 0xbf3f9e67, v99
	v_fmamk_f32 v107, v82, 0xbeb58ec6, v117
	s_delay_alu instid0(VALU_DEP_4) | instskip(NEXT) | instid1(VALU_DEP_4)
	v_add_f32_e32 v102, v106, v102
	v_dual_fmamk_f32 v106, v92, 0x3f29c268, v118 :: v_dual_add_f32 v41, v51, v41
	v_fmamk_f32 v108, v84, 0x3f62ad3f, v119
	s_delay_alu instid0(VALU_DEP_4) | instskip(NEXT) | instid1(VALU_DEP_3)
	v_dual_add_f32 v100, v107, v100 :: v_dual_mul_f32 v53, 0xbeedf032, v86
	v_add_f32_e32 v107, v106, v102
	s_delay_alu instid0(VALU_DEP_4) | instskip(NEXT) | instid1(VALU_DEP_3)
	v_dual_add_f32 v41, v45, v41 :: v_dual_mul_f32 v122, 0xbeb58ec6, v94
	v_dual_add_f32 v100, v108, v100 :: v_dual_fmamk_f32 v43, v78, 0x3f62ad3f, v53
	v_mul_f32_e32 v49, 0xbf7e222b, v93
	s_delay_alu instid0(VALU_DEP_3) | instskip(SKIP_3) | instid1(VALU_DEP_3)
	v_add_f32_e32 v41, v47, v41
	v_fmamk_f32 v106, v87, 0x3f116cb1, v121
	v_add_f32_e32 v40, v48, v40
	v_dual_add_f32 v42, v65, v43 :: v_dual_fmamk_f32 v43, v80, 0x3f116cb1, v52
	v_dual_add_f32 v37, v37, v41 :: v_dual_add_f32 v100, v106, v100
	s_delay_alu instid0(VALU_DEP_3) | instskip(SKIP_1) | instid1(VALU_DEP_4)
	v_add_f32_e32 v40, v50, v40
	v_fmamk_f32 v102, v79, 0x3f52af12, v120
	v_dual_add_f32 v42, v43, v42 :: v_dual_fmamk_f32 v43, v82, 0x3df6dbef, v49
	s_delay_alu instid0(VALU_DEP_4) | instskip(SKIP_1) | instid1(VALU_DEP_3)
	v_dual_mul_f32 v124, 0xbf788fa5, v96 :: v_dual_add_f32 v37, v39, v37
	v_fmamk_f32 v106, v91, 0xbf3f9e67, v123
	v_dual_mul_f32 v45, 0xbf6f5d39, v95 :: v_dual_add_f32 v42, v43, v42
	v_add_f32_e32 v43, v44, v40
	s_delay_alu instid0(VALU_DEP_4) | instskip(SKIP_2) | instid1(VALU_DEP_4)
	v_dual_add_f32 v1, v1, v37 :: v_dual_add_f32 v102, v66, v102
	v_fmamk_f32 v108, v81, 0x3f6f5d39, v122
	v_dual_add_f32 v106, v106, v100 :: v_dual_mul_f32 v47, 0xbf29c268, v98
	v_dual_fmamk_f32 v44, v84, 0xbeb58ec6, v45 :: v_dual_add_f32 v41, v46, v43
	s_delay_alu instid0(VALU_DEP_3) | instskip(NEXT) | instid1(VALU_DEP_2)
	v_dual_add_f32 v102, v108, v102 :: v_dual_fmac_f32 v111, 0xbf7e222b, v79
	v_dual_fmamk_f32 v43, v87, 0xbf3f9e67, v47 :: v_dual_add_f32 v42, v44, v42
	v_mul_f32_e32 v44, 0xbe750f2a, v101
	s_delay_alu instid0(VALU_DEP_4) | instskip(NEXT) | instid1(VALU_DEP_4)
	v_add_f32_e32 v36, v36, v41
	v_dual_fmamk_f32 v108, v83, 0x3e750f2a, v124 :: v_dual_add_f32 v37, v66, v111
	s_delay_alu instid0(VALU_DEP_4) | instskip(NEXT) | instid1(VALU_DEP_4)
	v_add_f32_e32 v39, v43, v42
	v_fmamk_f32 v41, v91, 0xbf788fa5, v44
	v_fmamk_f32 v100, v78, 0x3f116cb1, v125
	s_delay_alu instid0(VALU_DEP_4) | instskip(SKIP_1) | instid1(VALU_DEP_4)
	v_add_f32_e32 v102, v108, v102
	v_dual_fmamk_f32 v108, v85, 0xbf29c268, v126 :: v_dual_add_f32 v1, v3, v1
	v_add_f32_e32 v39, v41, v39
	s_delay_alu instid0(VALU_DEP_4) | instskip(SKIP_1) | instid1(VALU_DEP_4)
	v_add_f32_e32 v100, v65, v100
	v_add_f32_e32 v36, v38, v36
	v_dual_add_f32 v102, v108, v102 :: v_dual_fmac_f32 v113, 0xbe750f2a, v81
	v_fma_f32 v38, 0x3df6dbef, v78, -v112
	v_mul_f32_e32 v130, 0x3f62ad3f, v103
	s_delay_alu instid0(VALU_DEP_4) | instskip(NEXT) | instid1(VALU_DEP_4)
	v_add_f32_e32 v0, v0, v36
	v_dual_fmac_f32 v110, 0x3f6f5d39, v83 :: v_dual_add_f32 v3, v113, v37
	s_delay_alu instid0(VALU_DEP_4)
	v_add_f32_e32 v36, v65, v38
	v_fma_f32 v37, 0xbf788fa5, v80, -v115
	v_fmac_f32_e32 v120, 0xbf52af12, v79
	v_fmamk_f32 v108, v89, 0xbf7e222b, v128
	v_mul_f32_e32 v90, 0x3f62ad3f, v90
	v_add_f32_e32 v0, v2, v0
	v_dual_add_f32 v2, v110, v3 :: v_dual_add_f32 v3, v37, v36
	v_fma_f32 v36, 0xbeb58ec6, v82, -v117
	v_dual_add_f32 v100, v109, v100 :: v_dual_fmamk_f32 v109, v82, 0xbf788fa5, v129
	v_dual_add_f32 v37, v66, v120 :: v_dual_fmac_f32 v122, 0xbf6f5d39, v81
	s_delay_alu instid0(VALU_DEP_3) | instskip(SKIP_2) | instid1(VALU_DEP_4)
	v_add_f32_e32 v3, v36, v3
	v_add_f32_e32 v102, v108, v102
	v_fmac_f32_e32 v118, 0xbf29c268, v92
	v_dual_fmamk_f32 v108, v92, 0xbeedf032, v130 :: v_dual_add_f32 v37, v122, v37
	v_fmac_f32_e32 v124, 0xbe750f2a, v83
	v_add_f32_e32 v100, v109, v100
	s_delay_alu instid0(VALU_DEP_3) | instskip(SKIP_1) | instid1(VALU_DEP_4)
	v_dual_fmac_f32 v116, 0xbf52af12, v89 :: v_dual_add_f32 v109, v108, v102
	v_fmac_f32_e32 v114, 0x3eedf032, v85
	v_add_f32_e32 v37, v124, v37
	v_fma_f32 v36, 0x3f62ad3f, v84, -v119
	v_fma_f32 v38, 0x3f116cb1, v87, -v121
	v_fmac_f32_e32 v126, 0x3f29c268, v85
	v_add_f32_e32 v2, v114, v2
	v_fmamk_f32 v132, v84, 0xbf3f9e67, v131
	v_add_f32_e32 v36, v36, v3
	v_fmac_f32_e32 v128, 0x3f7e222b, v89
	s_delay_alu instid0(VALU_DEP_4) | instskip(SKIP_1) | instid1(VALU_DEP_4)
	v_dual_add_f32 v37, v126, v37 :: v_dual_add_f32 v2, v116, v2
	v_fma_f32 v43, 0x3f116cb1, v80, -v52
	v_add_f32_e32 v36, v38, v36
	v_fma_f32 v38, 0xbf3f9e67, v91, -v123
	v_fma_f32 v42, 0xbeb58ec6, v80, -v127
	v_add_f32_e32 v3, v118, v2
	v_fma_f32 v2, 0x3f116cb1, v78, -v125
	v_fmamk_f32 v102, v79, 0x3eedf032, v90
	v_fmac_f32_e32 v90, 0xbeedf032, v79
	v_fmac_f32_e32 v130, 0x3eedf032, v92
	v_fma_f32 v44, 0xbf788fa5, v91, -v44
	v_dual_add_f32 v41, v65, v2 :: v_dual_add_f32 v2, v38, v36
	v_add_f32_e32 v36, v128, v37
	v_fma_f32 v37, 0x3f62ad3f, v78, -v53
	v_mul_f32_e32 v94, 0x3f116cb1, v94
	v_add_f32_e32 v102, v66, v102
	v_add_f32_e32 v38, v42, v41
	s_delay_alu instid0(VALU_DEP_4) | instskip(SKIP_3) | instid1(VALU_DEP_4)
	v_dual_add_f32 v42, v66, v90 :: v_dual_add_f32 v37, v65, v37
	v_add_f32_e32 v100, v132, v100
	v_mul_f32_e32 v132, 0x3eedf032, v101
	v_fma_f32 v41, 0xbf788fa5, v82, -v129
	v_dual_mul_f32 v48, 0xbf788fa5, v103 :: v_dual_add_f32 v37, v43, v37
	v_fma_f32 v43, 0x3df6dbef, v82, -v49
	v_fmamk_f32 v134, v81, 0x3f52af12, v94
	v_fmac_f32_e32 v94, 0xbf52af12, v81
	v_add_f32_e32 v38, v41, v38
	v_fma_f32 v41, 0xbf3f9e67, v84, -v131
	v_add_f32_e32 v37, v43, v37
	v_fma_f32 v43, 0xbeb58ec6, v84, -v45
	v_mul_f32_e32 v96, 0x3df6dbef, v96
	v_add_f32_e32 v102, v134, v102
	v_add_f32_e32 v42, v94, v42
	s_delay_alu instid0(VALU_DEP_4) | instskip(NEXT) | instid1(VALU_DEP_4)
	v_dual_add_f32 v38, v41, v38 :: v_dual_add_f32 v37, v43, v37
	v_fmamk_f32 v134, v83, 0x3f7e222b, v96
	v_fmac_f32_e32 v96, 0xbf7e222b, v83
	v_fma_f32 v41, 0x3df6dbef, v87, -v133
	v_fmamk_f32 v50, v92, 0x3e750f2a, v48
	v_and_b32_e32 v45, 0xffff, v74
	v_add_f32_e32 v55, v134, v102
	v_add_f32_e32 v42, v96, v42
	v_fmamk_f32 v108, v87, 0x3df6dbef, v133
	v_add_f32_e32 v38, v41, v38
	v_fmac_f32_e32 v48, 0xbe750f2a, v92
	v_lshl_add_u32 v45, v45, 3, v71
	s_delay_alu instid0(VALU_DEP_4) | instskip(SKIP_1) | instid1(VALU_DEP_1)
	v_add_f32_e32 v100, v108, v100
	v_fmamk_f32 v108, v91, 0x3f62ad3f, v132
	v_add_f32_e32 v108, v108, v100
	v_fmamk_f32 v100, v85, 0x3f6f5d39, v97
	s_delay_alu instid0(VALU_DEP_1) | instskip(SKIP_1) | instid1(VALU_DEP_2)
	v_dual_fmac_f32 v97, 0xbf6f5d39, v85 :: v_dual_add_f32 v54, v100, v55
	v_fmamk_f32 v55, v89, 0x3f29c268, v99
	v_add_f32_e32 v41, v97, v42
	v_fmac_f32_e32 v99, 0xbf29c268, v89
	v_fma_f32 v42, 0xbf3f9e67, v87, -v47
	s_delay_alu instid0(VALU_DEP_4) | instskip(NEXT) | instid1(VALU_DEP_3)
	v_add_f32_e32 v54, v55, v54
	v_add_f32_e32 v41, v99, v41
	s_delay_alu instid0(VALU_DEP_3) | instskip(SKIP_1) | instid1(VALU_DEP_4)
	v_add_f32_e32 v46, v42, v37
	v_add_f32_e32 v37, v130, v36
	;; [unrolled: 1-line block ×3, first 2 shown]
	v_fma_f32 v43, 0x3f62ad3f, v91, -v132
	v_add_f32_e32 v42, v48, v41
	v_add_f32_e32 v41, v44, v46
	s_delay_alu instid0(VALU_DEP_3)
	v_add_f32_e32 v36, v43, v38
	ds_store_2addr_b64 v45, v[0:1], v[39:40] offset1:1
	ds_store_2addr_b64 v45, v[108:109], v[106:107] offset0:2 offset1:3
	ds_store_2addr_b64 v45, v[104:105], v[67:68] offset0:4 offset1:5
	;; [unrolled: 1-line block ×5, first 2 shown]
	ds_store_b64 v45, v[41:42] offset:96
.LBB0_17:
	s_wait_alu 0xfffe
	s_or_b32 exec_lo, exec_lo, s1
	v_add_nc_u32_e32 v42, 0x400, v72
	global_wb scope:SCOPE_SE
	s_wait_dscnt 0x0
	s_barrier_signal -1
	s_barrier_wait -1
	global_inv scope:SCOPE_SE
	ds_load_2addr_b64 v[0:3], v72 offset1:117
	ds_load_2addr_b64 v[36:39], v42 offset0:106 offset1:223
	ds_load_b64 v[40:41], v72 offset:3744
	s_and_saveexec_b32 s1, s0
	s_cbranch_execz .LBB0_19
; %bb.18:
	v_add_nc_u32_e32 v43, 0xc00, v72
	ds_load_b64 v[67:68], v72 offset:520
	ds_load_2addr_b64 v[60:63], v42 offset0:54 offset1:171
	ds_load_2addr_b64 v[56:59], v43 offset0:32 offset1:149
.LBB0_19:
	s_wait_alu 0xfffe
	s_or_b32 exec_lo, exec_lo, s1
	s_wait_dscnt 0x1
	v_dual_mul_f32 v42, v19, v37 :: v_dual_mul_f32 v43, v13, v39
	v_dual_mul_f32 v44, v17, v3 :: v_dual_mul_f32 v19, v19, v36
	s_delay_alu instid0(VALU_DEP_2) | instskip(SKIP_1) | instid1(VALU_DEP_3)
	v_dual_mul_f32 v17, v17, v2 :: v_dual_fmac_f32 v42, v18, v36
	s_wait_dscnt 0x0
	v_dual_fmac_f32 v43, v12, v38 :: v_dual_mul_f32 v36, v15, v40
	s_delay_alu instid0(VALU_DEP_3) | instskip(NEXT) | instid1(VALU_DEP_3)
	v_fmac_f32_e32 v44, v16, v2
	v_fma_f32 v45, v16, v3, -v17
	v_fma_f32 v18, v18, v37, -v19
	s_delay_alu instid0(VALU_DEP_4)
	v_dual_add_f32 v2, v42, v43 :: v_dual_mul_f32 v3, v13, v38
	v_fma_f32 v19, v14, v41, -v36
	v_mul_f32_e32 v13, v15, v41
	global_wb scope:SCOPE_SE
	v_fma_f32 v2, -0.5, v2, v0
	v_fma_f32 v36, v12, v39, -v3
	v_sub_f32_e32 v17, v45, v19
	v_dual_fmac_f32 v13, v14, v40 :: v_dual_sub_f32 v14, v44, v42
	v_add_f32_e32 v15, v0, v44
	s_barrier_signal -1
	s_delay_alu instid0(VALU_DEP_3) | instskip(SKIP_1) | instid1(VALU_DEP_3)
	v_fmamk_f32 v12, v17, 0xbf737871, v2
	v_fmac_f32_e32 v2, 0x3f737871, v17
	v_dual_sub_f32 v16, v13, v43 :: v_dual_add_f32 v3, v15, v42
	v_sub_f32_e32 v38, v43, v13
	s_barrier_wait -1
	global_inv scope:SCOPE_SE
	v_dual_add_f32 v16, v14, v16 :: v_dual_add_f32 v3, v3, v43
	v_sub_f32_e32 v15, v18, v36
	v_dual_sub_f32 v39, v44, v13 :: v_dual_sub_f32 v40, v19, v36
	s_delay_alu instid0(VALU_DEP_3) | instskip(NEXT) | instid1(VALU_DEP_3)
	v_add_f32_e32 v14, v3, v13
	v_dual_add_f32 v37, v44, v13 :: v_dual_fmac_f32 v12, 0xbf167918, v15
	v_dual_fmac_f32 v2, 0x3f167918, v15 :: v_dual_add_f32 v3, v18, v36
	s_delay_alu instid0(VALU_DEP_2) | instskip(NEXT) | instid1(VALU_DEP_3)
	v_fma_f32 v0, -0.5, v37, v0
	v_fmac_f32_e32 v12, 0x3e9e377a, v16
	s_delay_alu instid0(VALU_DEP_3) | instskip(SKIP_4) | instid1(VALU_DEP_3)
	v_fmac_f32_e32 v2, 0x3e9e377a, v16
	v_sub_f32_e32 v37, v42, v44
	v_fma_f32 v3, -0.5, v3, v1
	v_fmamk_f32 v16, v15, 0x3f737871, v0
	v_dual_fmac_f32 v0, 0xbf737871, v15 :: v_dual_add_f32 v15, v1, v45
	v_fmamk_f32 v13, v39, 0x3f737871, v3
	s_delay_alu instid0(VALU_DEP_3) | instskip(SKIP_1) | instid1(VALU_DEP_4)
	v_fmac_f32_e32 v16, 0xbf167918, v17
	v_fmac_f32_e32 v3, 0xbf737871, v39
	v_dual_add_f32 v15, v15, v18 :: v_dual_fmac_f32 v0, 0x3f167918, v17
	v_add_f32_e32 v17, v45, v19
	v_dual_add_f32 v37, v37, v38 :: v_dual_sub_f32 v38, v42, v43
	s_delay_alu instid0(VALU_DEP_3) | instskip(NEXT) | instid1(VALU_DEP_3)
	v_dual_add_f32 v15, v15, v36 :: v_dual_sub_f32 v36, v36, v19
	v_fma_f32 v1, -0.5, v17, v1
	s_delay_alu instid0(VALU_DEP_3)
	v_fmac_f32_e32 v16, 0x3e9e377a, v37
	v_fmac_f32_e32 v0, 0x3e9e377a, v37
	;; [unrolled: 1-line block ×3, first 2 shown]
	v_sub_f32_e32 v37, v45, v18
	v_fmamk_f32 v17, v38, 0xbf737871, v1
	v_dual_sub_f32 v18, v18, v45 :: v_dual_fmac_f32 v1, 0x3f737871, v38
	v_fmac_f32_e32 v3, 0xbf167918, v38
	s_delay_alu instid0(VALU_DEP_4) | instskip(NEXT) | instid1(VALU_DEP_3)
	v_add_f32_e32 v37, v37, v40
	v_dual_fmac_f32 v17, 0x3f167918, v39 :: v_dual_add_f32 v18, v18, v36
	s_delay_alu instid0(VALU_DEP_4) | instskip(SKIP_1) | instid1(VALU_DEP_4)
	v_fmac_f32_e32 v1, 0xbf167918, v39
	v_add_f32_e32 v15, v15, v19
	v_fmac_f32_e32 v13, 0x3e9e377a, v37
	v_fmac_f32_e32 v3, 0x3e9e377a, v37
	v_fmac_f32_e32 v17, 0x3e9e377a, v18
	v_fmac_f32_e32 v1, 0x3e9e377a, v18
	ds_store_2addr_b64 v77, v[14:15], v[12:13] offset1:13
	ds_store_2addr_b64 v77, v[16:17], v[0:1] offset0:26 offset1:39
	ds_store_b64 v77, v[2:3] offset:416
	s_and_saveexec_b32 s1, s0
	s_cbranch_execz .LBB0_21
; %bb.20:
	v_dual_mul_f32 v0, v9, v60 :: v_dual_mul_f32 v1, v11, v62
	v_dual_mul_f32 v2, v7, v58 :: v_dual_mul_f32 v3, v5, v56
	;; [unrolled: 1-line block ×3, first 2 shown]
	s_delay_alu instid0(VALU_DEP_3) | instskip(NEXT) | instid1(VALU_DEP_4)
	v_fma_f32 v12, v8, v61, -v0
	v_fma_f32 v13, v10, v63, -v1
	v_mul_f32_e32 v9, v9, v61
	v_fma_f32 v5, v4, v57, -v3
	v_dual_fmac_f32 v14, v4, v56 :: v_dual_mul_f32 v15, v7, v59
	v_fmac_f32_e32 v11, v10, v62
	v_fma_f32 v4, v6, v59, -v2
	s_delay_alu instid0(VALU_DEP_4) | instskip(SKIP_2) | instid1(VALU_DEP_4)
	v_add_f32_e32 v0, v13, v5
	v_sub_f32_e32 v19, v13, v5
	v_dual_fmac_f32 v15, v6, v58 :: v_dual_sub_f32 v6, v12, v13
	v_sub_f32_e32 v10, v12, v4
	v_dual_fmac_f32 v9, v8, v60 :: v_dual_add_f32 v2, v11, v14
	v_fma_f32 v1, -0.5, v0, v68
	s_delay_alu instid0(VALU_DEP_4) | instskip(NEXT) | instid1(VALU_DEP_3)
	v_dual_sub_f32 v7, v4, v5 :: v_dual_sub_f32 v18, v15, v14
	v_sub_f32_e32 v8, v9, v15
	s_delay_alu instid0(VALU_DEP_4) | instskip(SKIP_1) | instid1(VALU_DEP_3)
	v_fma_f32 v0, -0.5, v2, v67
	v_dual_sub_f32 v16, v11, v14 :: v_dual_sub_f32 v17, v9, v11
	v_fmamk_f32 v3, v8, 0x3f737871, v1
	s_delay_alu instid0(VALU_DEP_3) | instskip(SKIP_1) | instid1(VALU_DEP_4)
	v_fmamk_f32 v2, v10, 0xbf737871, v0
	v_add_f32_e32 v36, v7, v6
	v_dual_add_f32 v6, v12, v68 :: v_dual_add_f32 v17, v18, v17
	s_delay_alu instid0(VALU_DEP_3) | instskip(NEXT) | instid1(VALU_DEP_2)
	v_dual_add_f32 v7, v4, v12 :: v_dual_fmac_f32 v2, 0xbf167918, v19
	v_dual_fmac_f32 v3, 0x3f167918, v16 :: v_dual_add_f32 v6, v13, v6
	v_add_f32_e32 v18, v67, v9
	s_delay_alu instid0(VALU_DEP_3) | instskip(SKIP_1) | instid1(VALU_DEP_4)
	v_fmac_f32_e32 v68, -0.5, v7
	v_sub_f32_e32 v12, v13, v12
	v_dual_fmac_f32 v3, 0x3e9e377a, v36 :: v_dual_add_f32 v6, v5, v6
	v_sub_f32_e32 v13, v5, v4
	s_delay_alu instid0(VALU_DEP_4) | instskip(SKIP_1) | instid1(VALU_DEP_4)
	v_dual_fmamk_f32 v5, v16, 0x3f737871, v68 :: v_dual_add_f32 v18, v11, v18
	v_fmac_f32_e32 v1, 0xbf737871, v8
	v_dual_fmac_f32 v2, 0x3e9e377a, v17 :: v_dual_add_f32 v7, v4, v6
	s_delay_alu instid0(VALU_DEP_4) | instskip(NEXT) | instid1(VALU_DEP_4)
	v_add_f32_e32 v12, v13, v12
	v_fmac_f32_e32 v5, 0xbf167918, v8
	v_dual_add_f32 v13, v15, v9 :: v_dual_fmac_f32 v68, 0xbf737871, v16
	v_fmac_f32_e32 v1, 0xbf167918, v16
	s_delay_alu instid0(VALU_DEP_2) | instskip(NEXT) | instid1(VALU_DEP_3)
	v_dual_fmac_f32 v0, 0x3f737871, v10 :: v_dual_fmac_f32 v67, -0.5, v13
	v_fmac_f32_e32 v68, 0x3f167918, v8
	v_dual_sub_f32 v8, v11, v9 :: v_dual_sub_f32 v9, v14, v15
	v_dual_add_f32 v4, v14, v18 :: v_dual_fmac_f32 v5, 0x3e9e377a, v12
	v_mul_u32_u24_e32 v11, 0x41, v76
	v_fmac_f32_e32 v0, 0x3f167918, v19
	v_fmac_f32_e32 v1, 0x3e9e377a, v36
	s_delay_alu instid0(VALU_DEP_4) | instskip(SKIP_3) | instid1(VALU_DEP_3)
	v_add_f32_e32 v6, v15, v4
	v_fmamk_f32 v4, v19, 0xbf737871, v67
	v_dual_fmac_f32 v67, 0x3f737871, v19 :: v_dual_add_f32 v8, v9, v8
	v_dual_fmac_f32 v68, 0x3e9e377a, v12 :: v_dual_add_nc_u32 v9, v11, v75
	v_fmac_f32_e32 v4, 0x3f167918, v10
	s_delay_alu instid0(VALU_DEP_3) | instskip(SKIP_1) | instid1(VALU_DEP_4)
	v_fmac_f32_e32 v67, 0xbf167918, v10
	v_fmac_f32_e32 v0, 0x3e9e377a, v17
	v_lshl_add_u32 v9, v9, 3, v71
	s_delay_alu instid0(VALU_DEP_4) | instskip(NEXT) | instid1(VALU_DEP_4)
	v_fmac_f32_e32 v4, 0x3e9e377a, v8
	v_fmac_f32_e32 v67, 0x3e9e377a, v8
	ds_store_2addr_b64 v9, v[6:7], v[2:3] offset1:13
	ds_store_2addr_b64 v9, v[67:68], v[4:5] offset0:26 offset1:39
	ds_store_b64 v9, v[0:1] offset:416
.LBB0_21:
	s_wait_alu 0xfffe
	s_or_b32 exec_lo, exec_lo, s1
	global_wb scope:SCOPE_SE
	s_wait_dscnt 0x0
	s_barrier_signal -1
	s_barrier_wait -1
	global_inv scope:SCOPE_SE
	ds_load_2addr_b64 v[0:3], v72 offset0:65 offset1:130
	v_add_nc_u32_e32 v4, 0x400, v72
	v_add_nc_u32_e32 v8, 0x800, v72
	s_wait_dscnt 0x0
	v_mul_f32_e32 v18, v33, v1
	v_mul_f32_e32 v19, v33, v0
	v_dual_mul_f32 v33, v35, v3 :: v_dual_add_nc_u32 v12, 0xc00, v72
	v_mul_f32_e32 v35, v35, v2
	ds_load_2addr_b64 v[4:7], v4 offset0:67 offset1:132
	ds_load_2addr_b64 v[8:11], v8 offset0:69 offset1:134
	v_dual_fmac_f32 v18, v32, v0 :: v_dual_fmac_f32 v33, v34, v2
	ds_load_2addr_b64 v[12:15], v12 offset0:71 offset1:136
	v_fma_f32 v0, v32, v1, -v19
	v_fma_f32 v1, v34, v3, -v35
	ds_load_b64 v[16:17], v72
	s_wait_dscnt 0x3
	v_mul_f32_e32 v19, v31, v7
	s_wait_dscnt 0x2
	v_dual_mul_f32 v32, v27, v11 :: v_dual_mul_f32 v3, v29, v4
	v_dual_mul_f32 v2, v29, v5 :: v_dual_mul_f32 v29, v31, v6
	s_delay_alu instid0(VALU_DEP_3) | instskip(NEXT) | instid1(VALU_DEP_3)
	v_fmac_f32_e32 v19, v30, v6
	v_dual_mul_f32 v31, v25, v9 :: v_dual_fmac_f32 v32, v26, v10
	s_delay_alu instid0(VALU_DEP_3)
	v_fmac_f32_e32 v2, v28, v4
	v_fma_f32 v3, v28, v5, -v3
	s_wait_dscnt 0x1
	v_mul_f32_e32 v5, v23, v14
	v_dual_mul_f32 v25, v25, v8 :: v_dual_mul_f32 v4, v23, v15
	v_dual_fmac_f32 v31, v24, v8 :: v_dual_mul_f32 v6, v27, v10
	v_mul_f32_e32 v8, v21, v12
	s_delay_alu instid0(VALU_DEP_4) | instskip(SKIP_2) | instid1(VALU_DEP_4)
	v_fma_f32 v5, v22, v15, -v5
	v_fma_f32 v28, v30, v7, -v29
	v_dual_mul_f32 v7, v21, v13 :: v_dual_fmac_f32 v4, v22, v14
	v_fma_f32 v8, v20, v13, -v8
	s_delay_alu instid0(VALU_DEP_4) | instskip(SKIP_1) | instid1(VALU_DEP_4)
	v_sub_f32_e32 v15, v0, v5
	v_fma_f32 v24, v24, v9, -v25
	v_fmac_f32_e32 v7, v20, v12
	v_fma_f32 v6, v26, v11, -v6
	v_dual_sub_f32 v21, v1, v8 :: v_dual_add_f32 v0, v0, v5
	v_dual_mul_f32 v10, 0x3f248dbb, v15 :: v_dual_sub_f32 v13, v18, v4
	s_delay_alu instid0(VALU_DEP_4) | instskip(SKIP_2) | instid1(VALU_DEP_4)
	v_sub_f32_e32 v20, v33, v7
	v_add_f32_e32 v18, v18, v4
	v_dual_sub_f32 v22, v2, v32 :: v_dual_sub_f32 v23, v3, v6
	v_fmac_f32_e32 v10, 0x3f7c1c5c, v21
	v_mul_f32_e32 v9, 0x3f248dbb, v13
	v_dual_add_f32 v25, v33, v7 :: v_dual_add_f32 v2, v2, v32
	s_delay_alu instid0(VALU_DEP_3) | instskip(NEXT) | instid1(VALU_DEP_3)
	v_dual_add_f32 v1, v1, v8 :: v_dual_fmac_f32 v10, 0x3f5db3d7, v23
	v_dual_fmac_f32 v9, 0x3f7c1c5c, v20 :: v_dual_sub_f32 v14, v19, v31
	s_wait_dscnt 0x0
	v_dual_fmamk_f32 v4, v18, 0x3f441b7d, v16 :: v_dual_fmamk_f32 v5, v0, 0x3f441b7d, v17
	s_delay_alu instid0(VALU_DEP_2) | instskip(NEXT) | instid1(VALU_DEP_2)
	v_dual_sub_f32 v26, v28, v24 :: v_dual_fmac_f32 v9, 0x3f5db3d7, v22
	v_dual_add_f32 v27, v3, v6 :: v_dual_fmac_f32 v4, 0x3e31d0d4, v25
	s_delay_alu instid0(VALU_DEP_3) | instskip(NEXT) | instid1(VALU_DEP_3)
	v_fmac_f32_e32 v5, 0x3e31d0d4, v1
	v_dual_fmac_f32 v10, 0x3eaf1d44, v26 :: v_dual_add_f32 v29, v19, v31
	s_delay_alu instid0(VALU_DEP_4) | instskip(NEXT) | instid1(VALU_DEP_3)
	v_dual_fmac_f32 v9, 0x3eaf1d44, v14 :: v_dual_add_f32 v30, v28, v24
	v_dual_fmac_f32 v4, -0.5, v2 :: v_dual_fmac_f32 v5, -0.5, v27
	s_delay_alu instid0(VALU_DEP_3) | instskip(SKIP_2) | instid1(VALU_DEP_4)
	v_fmamk_f32 v6, v29, 0x3f441b7d, v16
	v_add_f32_e32 v35, v25, v18
	v_add_f32_e32 v32, v1, v0
	v_dual_fmac_f32 v4, 0xbf708fb2, v29 :: v_dual_fmac_f32 v5, 0xbf708fb2, v30
	v_fmamk_f32 v8, v30, 0x3f441b7d, v17
	v_fmac_f32_e32 v6, 0x3e31d0d4, v18
	s_delay_alu instid0(VALU_DEP_3) | instskip(NEXT) | instid1(VALU_DEP_3)
	v_dual_add_f32 v34, v27, v32 :: v_dual_sub_f32 v3, v4, v10
	v_fmac_f32_e32 v8, 0x3e31d0d4, v0
	v_mul_f32_e32 v11, 0xbf248dbb, v26
	s_delay_alu instid0(VALU_DEP_4) | instskip(NEXT) | instid1(VALU_DEP_4)
	v_fmac_f32_e32 v6, -0.5, v2
	v_add_f32_e32 v28, v28, v34
	v_add_f32_e32 v34, v29, v35
	v_fmac_f32_e32 v8, -0.5, v27
	v_fmac_f32_e32 v11, 0x3f7c1c5c, v15
	v_fmac_f32_e32 v6, 0xbf708fb2, v25
	v_add_f32_e32 v4, v9, v5
	v_fma_f32 v5, 2.0, v10, v3
	s_delay_alu instid0(VALU_DEP_4) | instskip(SKIP_2) | instid1(VALU_DEP_3)
	v_dual_add_f32 v10, v14, v13 :: v_dual_fmac_f32 v11, 0xbf5db3d7, v23
	v_fmac_f32_e32 v8, 0xbf708fb2, v1
	v_add_f32_e32 v24, v24, v28
	v_sub_f32_e32 v33, v10, v20
	s_delay_alu instid0(VALU_DEP_4) | instskip(SKIP_1) | instid1(VALU_DEP_3)
	v_fmac_f32_e32 v11, 0x3eaf1d44, v21
	v_mul_f32_e32 v12, 0xbf248dbb, v14
	v_mul_f32_e32 v37, 0x3f5db3d7, v33
	s_delay_alu instid0(VALU_DEP_2)
	v_dual_sub_f32 v7, v6, v11 :: v_dual_fmac_f32 v12, 0x3f7c1c5c, v13
	v_fma_f32 v6, -2.0, v9, v4
	v_add_f32_e32 v28, v30, v32
	v_mul_f32_e32 v32, 0x3f7c1c5c, v14
	v_add_f32_e32 v14, v24, v17
	v_fmac_f32_e32 v12, 0xbf5db3d7, v22
	v_fmamk_f32 v24, v25, 0x3f441b7d, v16
	s_delay_alu instid0(VALU_DEP_2) | instskip(SKIP_2) | instid1(VALU_DEP_4)
	v_fmac_f32_e32 v12, 0x3eaf1d44, v20
	v_fma_f32 v9, 2.0, v11, v7
	v_dual_add_f32 v11, v26, v15 :: v_dual_mul_f32 v26, 0x3f7c1c5c, v26
	v_fmac_f32_e32 v24, 0x3e31d0d4, v29
	s_delay_alu instid0(VALU_DEP_4) | instskip(NEXT) | instid1(VALU_DEP_3)
	v_add_f32_e32 v8, v12, v8
	v_fma_f32 v25, 0xbf248dbb, v21, -v26
	s_delay_alu instid0(VALU_DEP_4) | instskip(NEXT) | instid1(VALU_DEP_3)
	v_sub_f32_e32 v36, v11, v21
	v_fma_f32 v10, -2.0, v12, v8
	v_dual_add_f32 v11, v2, v16 :: v_dual_fmac_f32 v24, -0.5, v2
	s_delay_alu instid0(VALU_DEP_4) | instskip(SKIP_3) | instid1(VALU_DEP_4)
	v_dual_fmac_f32 v25, 0x3f5db3d7, v23 :: v_dual_add_f32 v12, v27, v17
	v_fmac_f32_e32 v17, 0x3f441b7d, v1
	v_fma_f32 v1, 0xbf248dbb, v20, -v32
	v_add_f32_e32 v20, v2, v35
	v_dual_fmac_f32 v25, 0x3eaf1d44, v15 :: v_dual_fmac_f32 v12, -0.5, v28
	s_delay_alu instid0(VALU_DEP_4) | instskip(NEXT) | instid1(VALU_DEP_3)
	v_fmac_f32_e32 v17, 0x3e31d0d4, v30
	v_dual_fmac_f32 v1, 0x3f5db3d7, v22 :: v_dual_add_f32 v2, v19, v20
	v_fmac_f32_e32 v24, 0xbf708fb2, v18
	s_delay_alu instid0(VALU_DEP_3) | instskip(NEXT) | instid1(VALU_DEP_3)
	v_dual_fmac_f32 v12, 0x3f5db3d7, v33 :: v_dual_fmac_f32 v17, -0.5, v27
	v_fmac_f32_e32 v1, 0x3eaf1d44, v13
	s_delay_alu instid0(VALU_DEP_3) | instskip(NEXT) | instid1(VALU_DEP_3)
	v_sub_f32_e32 v18, v24, v25
	v_fma_f32 v21, -2.0, v37, v12
	s_delay_alu instid0(VALU_DEP_4) | instskip(SKIP_3) | instid1(VALU_DEP_4)
	v_fmac_f32_e32 v17, 0xbf708fb2, v0
	v_dual_fmac_f32 v11, -0.5, v34 :: v_dual_mul_f32 v38, 0x3f5db3d7, v36
	v_add_f32_e32 v0, v31, v2
	v_add_nc_u32_e32 v2, 0xc00, v73
	v_add_f32_e32 v19, v1, v17
	s_delay_alu instid0(VALU_DEP_4) | instskip(SKIP_2) | instid1(VALU_DEP_4)
	v_fmac_f32_e32 v11, 0xbf5db3d7, v36
	v_fma_f32 v15, 2.0, v25, v18
	v_dual_add_f32 v13, v0, v16 :: v_dual_add_nc_u32 v0, 0x400, v73
	v_fma_f32 v16, -2.0, v1, v19
	v_add_nc_u32_e32 v1, 0x800, v73
	v_fma_f32 v20, 2.0, v38, v11
	ds_store_b64 v73, v[13:14]
	ds_store_2addr_b64 v73, v[3:4], v[7:8] offset0:65 offset1:130
	ds_store_2addr_b64 v0, v[11:12], v[18:19] offset0:67 offset1:132
	;; [unrolled: 1-line block ×4, first 2 shown]
	global_wb scope:SCOPE_SE
	s_wait_dscnt 0x0
	s_barrier_signal -1
	s_barrier_wait -1
	global_inv scope:SCOPE_SE
	s_and_b32 exec_lo, exec_lo, vcc_lo
	s_cbranch_execz .LBB0_23
; %bb.22:
	s_clause 0xb
	global_load_b64 v[27:28], v69, s[8:9]
	global_load_b64 v[29:30], v69, s[8:9] offset:360
	global_load_b64 v[31:32], v69, s[8:9] offset:720
	;; [unrolled: 1-line block ×11, first 2 shown]
	v_mad_co_u64_u32 v[15:16], null, s6, v64, 0
	v_mad_co_u64_u32 v[51:52], null, s4, v70, 0
	s_mov_b32 s2, 0x1c01c01c
	s_mov_b32 s3, 0x3f5c01c0
	s_mul_u64 s[0:1], s[4:5], 0x168
	s_delay_alu instid0(VALU_DEP_2) | instskip(NEXT) | instid1(VALU_DEP_2)
	v_mov_b32_e32 v3, v16
	v_mov_b32_e32 v7, v52
	s_delay_alu instid0(VALU_DEP_2)
	v_mad_co_u64_u32 v[11:12], null, s7, v64, v[3:4]
	ds_load_b64 v[53:54], v73
	ds_load_2addr_b64 v[3:6], v73 offset0:45 offset1:90
	v_mad_co_u64_u32 v[17:18], null, s5, v70, v[7:8]
	ds_load_2addr_b64 v[7:10], v73 offset0:135 offset1:180
	v_mov_b32_e32 v16, v11
	ds_load_2addr_b64 v[11:14], v0 offset0:97 offset1:142
	v_mov_b32_e32 v52, v17
	v_lshlrev_b64_e32 v[55:56], 3, v[15:16]
	ds_load_2addr_b64 v[15:18], v1 offset0:59 offset1:104
	ds_load_2addr_b64 v[19:22], v1 offset0:149 offset1:194
	;; [unrolled: 1-line block ×3, first 2 shown]
	v_lshlrev_b64_e32 v[0:1], 3, v[51:52]
	v_add_co_u32 v55, vcc_lo, s12, v55
	v_add_co_ci_u32_e32 v56, vcc_lo, s13, v56, vcc_lo
	s_delay_alu instid0(VALU_DEP_2) | instskip(SKIP_1) | instid1(VALU_DEP_2)
	v_add_co_u32 v0, vcc_lo, v55, v0
	s_wait_alu 0xfffd
	v_add_co_ci_u32_e32 v1, vcc_lo, v56, v1, vcc_lo
	s_wait_loadcnt_dscnt 0xa05
	v_dual_mul_f32 v2, v54, v28 :: v_dual_mul_f32 v51, v4, v30
	s_wait_loadcnt_dscnt 0x804
	v_dual_mul_f32 v28, v53, v28 :: v_dual_mul_f32 v57, v8, v34
	v_mul_f32_e32 v30, v3, v30
	s_wait_loadcnt_dscnt 0x603
	v_dual_mul_f32 v52, v6, v32 :: v_dual_mul_f32 v59, v12, v38
	s_wait_loadcnt_dscnt 0x402
	v_dual_mul_f32 v32, v5, v32 :: v_dual_mul_f32 v61, v16, v42
	v_mul_f32_e32 v34, v7, v34
	;; [unrolled: 5-line block ×3, first 2 shown]
	v_fmac_f32_e32 v2, v53, v27
	v_fma_f32 v27, v27, v54, -v28
	v_dual_mul_f32 v60, v14, v40 :: v_dual_fmac_f32 v51, v3, v29
	v_dual_mul_f32 v40, v13, v40 :: v_dual_fmac_f32 v57, v7, v33
	v_fma_f32 v28, v29, v4, -v30
	v_mul_f32_e32 v42, v15, v42
	v_fmac_f32_e32 v52, v5, v31
	v_fma_f32 v29, v31, v6, -v32
	v_dual_mul_f32 v62, v18, v44 :: v_dual_fmac_f32 v59, v11, v37
	v_dual_mul_f32 v44, v17, v44 :: v_dual_fmac_f32 v61, v15, v41
	v_fma_f32 v30, v33, v8, -v34
	v_mul_f32_e32 v46, v19, v46
	v_dual_mul_f32 v64, v22, v48 :: v_dual_fmac_f32 v63, v19, v45
	v_fmac_f32_e32 v58, v9, v35
	v_fma_f32 v31, v35, v10, -v36
	v_dual_mul_f32 v48, v21, v48 :: v_dual_fmac_f32 v65, v23, v49
	v_fma_f32 v32, v37, v12, -v38
	v_cvt_f64_f32_e32 v[2:3], v2
	v_cvt_f64_f32_e32 v[4:5], v27
	v_mul_f32_e32 v50, v23, v50
	v_fmac_f32_e32 v60, v13, v39
	v_fma_f32 v33, v39, v14, -v40
	v_cvt_f64_f32_e32 v[6:7], v51
	v_cvt_f64_f32_e32 v[8:9], v28
	v_fma_f32 v35, v41, v16, -v42
	v_cvt_f64_f32_e32 v[10:11], v52
	v_cvt_f64_f32_e32 v[12:13], v29
	v_fmac_f32_e32 v62, v17, v43
	v_fma_f32 v39, v43, v18, -v44
	v_cvt_f64_f32_e32 v[14:15], v57
	v_cvt_f64_f32_e32 v[16:17], v30
	v_fma_f32 v43, v45, v20, -v46
	v_fmac_f32_e32 v64, v21, v47
	v_cvt_f64_f32_e32 v[18:19], v58
	v_cvt_f64_f32_e32 v[20:21], v31
	v_fma_f32 v47, v47, v22, -v48
	v_cvt_f64_f32_e32 v[22:23], v59
	v_cvt_f64_f32_e32 v[27:28], v32
	v_fma_f32 v24, v49, v24, -v50
	v_cvt_f64_f32_e32 v[29:30], v60
	v_cvt_f64_f32_e32 v[31:32], v33
	;; [unrolled: 1-line block ×12, first 2 shown]
	s_wait_alu 0xfffe
	v_add_co_u32 v53, vcc_lo, v0, s0
	s_wait_alu 0xfffd
	v_add_co_ci_u32_e32 v54, vcc_lo, s1, v1, vcc_lo
	v_mul_f64_e32 v[2:3], s[2:3], v[2:3]
	v_mul_f64_e32 v[4:5], s[2:3], v[4:5]
	v_add_co_u32 v55, vcc_lo, v53, s0
	s_wait_alu 0xfffd
	v_add_co_ci_u32_e32 v56, vcc_lo, s1, v54, vcc_lo
	v_mul_f64_e32 v[6:7], s[2:3], v[6:7]
	v_mul_f64_e32 v[8:9], s[2:3], v[8:9]
	;; [unrolled: 1-line block ×4, first 2 shown]
	v_add_co_u32 v57, vcc_lo, v55, s0
	v_mul_f64_e32 v[14:15], s[2:3], v[14:15]
	v_mul_f64_e32 v[16:17], s[2:3], v[16:17]
	s_wait_alu 0xfffd
	v_add_co_ci_u32_e32 v58, vcc_lo, s1, v56, vcc_lo
	v_mul_f64_e32 v[18:19], s[2:3], v[18:19]
	v_mul_f64_e32 v[20:21], s[2:3], v[20:21]
	v_add_co_u32 v59, vcc_lo, v57, s0
	v_mul_f64_e32 v[22:23], s[2:3], v[22:23]
	v_mul_f64_e32 v[27:28], s[2:3], v[27:28]
	;; [unrolled: 1-line block ×14, first 2 shown]
	s_wait_alu 0xfffd
	v_add_co_ci_u32_e32 v60, vcc_lo, s1, v58, vcc_lo
	v_add_co_u32 v61, vcc_lo, v59, s0
	v_cvt_f32_f64_e32 v2, v[2:3]
	v_cvt_f32_f64_e32 v3, v[4:5]
	s_wait_alu 0xfffd
	v_add_co_ci_u32_e32 v62, vcc_lo, s1, v60, vcc_lo
	v_cvt_f32_f64_e32 v4, v[6:7]
	v_cvt_f32_f64_e32 v5, v[8:9]
	;; [unrolled: 1-line block ×22, first 2 shown]
	v_add_co_u32 v29, vcc_lo, v61, s0
	s_wait_alu 0xfffd
	v_add_co_ci_u32_e32 v30, vcc_lo, s1, v62, vcc_lo
	s_delay_alu instid0(VALU_DEP_2) | instskip(SKIP_1) | instid1(VALU_DEP_2)
	v_add_co_u32 v31, vcc_lo, v29, s0
	s_wait_alu 0xfffd
	v_add_co_ci_u32_e32 v32, vcc_lo, s1, v30, vcc_lo
	s_delay_alu instid0(VALU_DEP_2) | instskip(SKIP_1) | instid1(VALU_DEP_2)
	;; [unrolled: 4-line block ×5, first 2 shown]
	v_add_co_u32 v39, vcc_lo, v37, s0
	s_wait_alu 0xfffd
	v_add_co_ci_u32_e32 v40, vcc_lo, s1, v38, vcc_lo
	s_clause 0x4
	global_store_b64 v[0:1], v[2:3], off
	global_store_b64 v[53:54], v[4:5], off
	;; [unrolled: 1-line block ×12, first 2 shown]
	global_load_b64 v[0:1], v69, s[8:9] offset:4320
	s_wait_loadcnt 0x0
	v_mul_f32_e32 v2, v26, v1
	v_mul_f32_e32 v1, v25, v1
	s_delay_alu instid0(VALU_DEP_2) | instskip(NEXT) | instid1(VALU_DEP_2)
	v_fmac_f32_e32 v2, v25, v0
	v_fma_f32 v3, v0, v26, -v1
	s_delay_alu instid0(VALU_DEP_2) | instskip(NEXT) | instid1(VALU_DEP_2)
	v_cvt_f64_f32_e32 v[0:1], v2
	v_cvt_f64_f32_e32 v[2:3], v3
	s_delay_alu instid0(VALU_DEP_2) | instskip(NEXT) | instid1(VALU_DEP_2)
	v_mul_f64_e32 v[0:1], s[2:3], v[0:1]
	v_mul_f64_e32 v[2:3], s[2:3], v[2:3]
	s_delay_alu instid0(VALU_DEP_2) | instskip(NEXT) | instid1(VALU_DEP_2)
	v_cvt_f32_f64_e32 v0, v[0:1]
	v_cvt_f32_f64_e32 v1, v[2:3]
	v_add_co_u32 v2, vcc_lo, v39, s0
	s_wait_alu 0xfffd
	v_add_co_ci_u32_e32 v3, vcc_lo, s1, v40, vcc_lo
	global_store_b64 v[2:3], v[0:1], off
.LBB0_23:
	s_nop 0
	s_sendmsg sendmsg(MSG_DEALLOC_VGPRS)
	s_endpgm
	.section	.rodata,"a",@progbits
	.p2align	6, 0x0
	.amdhsa_kernel bluestein_single_back_len585_dim1_sp_op_CI_CI
		.amdhsa_group_segment_fixed_size 14040
		.amdhsa_private_segment_fixed_size 0
		.amdhsa_kernarg_size 104
		.amdhsa_user_sgpr_count 2
		.amdhsa_user_sgpr_dispatch_ptr 0
		.amdhsa_user_sgpr_queue_ptr 0
		.amdhsa_user_sgpr_kernarg_segment_ptr 1
		.amdhsa_user_sgpr_dispatch_id 0
		.amdhsa_user_sgpr_private_segment_size 0
		.amdhsa_wavefront_size32 1
		.amdhsa_uses_dynamic_stack 0
		.amdhsa_enable_private_segment 0
		.amdhsa_system_sgpr_workgroup_id_x 1
		.amdhsa_system_sgpr_workgroup_id_y 0
		.amdhsa_system_sgpr_workgroup_id_z 0
		.amdhsa_system_sgpr_workgroup_info 0
		.amdhsa_system_vgpr_workitem_id 0
		.amdhsa_next_free_vgpr 141
		.amdhsa_next_free_sgpr 14
		.amdhsa_reserve_vcc 1
		.amdhsa_float_round_mode_32 0
		.amdhsa_float_round_mode_16_64 0
		.amdhsa_float_denorm_mode_32 3
		.amdhsa_float_denorm_mode_16_64 3
		.amdhsa_fp16_overflow 0
		.amdhsa_workgroup_processor_mode 1
		.amdhsa_memory_ordered 1
		.amdhsa_forward_progress 0
		.amdhsa_round_robin_scheduling 0
		.amdhsa_exception_fp_ieee_invalid_op 0
		.amdhsa_exception_fp_denorm_src 0
		.amdhsa_exception_fp_ieee_div_zero 0
		.amdhsa_exception_fp_ieee_overflow 0
		.amdhsa_exception_fp_ieee_underflow 0
		.amdhsa_exception_fp_ieee_inexact 0
		.amdhsa_exception_int_div_zero 0
	.end_amdhsa_kernel
	.text
.Lfunc_end0:
	.size	bluestein_single_back_len585_dim1_sp_op_CI_CI, .Lfunc_end0-bluestein_single_back_len585_dim1_sp_op_CI_CI
                                        ; -- End function
	.section	.AMDGPU.csdata,"",@progbits
; Kernel info:
; codeLenInByte = 14536
; NumSgprs: 16
; NumVgprs: 141
; ScratchSize: 0
; MemoryBound: 0
; FloatMode: 240
; IeeeMode: 1
; LDSByteSize: 14040 bytes/workgroup (compile time only)
; SGPRBlocks: 1
; VGPRBlocks: 17
; NumSGPRsForWavesPerEU: 16
; NumVGPRsForWavesPerEU: 141
; Occupancy: 10
; WaveLimiterHint : 1
; COMPUTE_PGM_RSRC2:SCRATCH_EN: 0
; COMPUTE_PGM_RSRC2:USER_SGPR: 2
; COMPUTE_PGM_RSRC2:TRAP_HANDLER: 0
; COMPUTE_PGM_RSRC2:TGID_X_EN: 1
; COMPUTE_PGM_RSRC2:TGID_Y_EN: 0
; COMPUTE_PGM_RSRC2:TGID_Z_EN: 0
; COMPUTE_PGM_RSRC2:TIDIG_COMP_CNT: 0
	.text
	.p2alignl 7, 3214868480
	.fill 96, 4, 3214868480
	.type	__hip_cuid_dcdbe8ca914437a7,@object ; @__hip_cuid_dcdbe8ca914437a7
	.section	.bss,"aw",@nobits
	.globl	__hip_cuid_dcdbe8ca914437a7
__hip_cuid_dcdbe8ca914437a7:
	.byte	0                               ; 0x0
	.size	__hip_cuid_dcdbe8ca914437a7, 1

	.ident	"AMD clang version 19.0.0git (https://github.com/RadeonOpenCompute/llvm-project roc-6.4.0 25133 c7fe45cf4b819c5991fe208aaa96edf142730f1d)"
	.section	".note.GNU-stack","",@progbits
	.addrsig
	.addrsig_sym __hip_cuid_dcdbe8ca914437a7
	.amdgpu_metadata
---
amdhsa.kernels:
  - .args:
      - .actual_access:  read_only
        .address_space:  global
        .offset:         0
        .size:           8
        .value_kind:     global_buffer
      - .actual_access:  read_only
        .address_space:  global
        .offset:         8
        .size:           8
        .value_kind:     global_buffer
      - .actual_access:  read_only
        .address_space:  global
        .offset:         16
        .size:           8
        .value_kind:     global_buffer
      - .actual_access:  read_only
        .address_space:  global
        .offset:         24
        .size:           8
        .value_kind:     global_buffer
      - .actual_access:  read_only
        .address_space:  global
        .offset:         32
        .size:           8
        .value_kind:     global_buffer
      - .offset:         40
        .size:           8
        .value_kind:     by_value
      - .address_space:  global
        .offset:         48
        .size:           8
        .value_kind:     global_buffer
      - .address_space:  global
        .offset:         56
        .size:           8
        .value_kind:     global_buffer
      - .address_space:  global
        .offset:         64
        .size:           8
        .value_kind:     global_buffer
      - .address_space:  global
        .offset:         72
        .size:           8
        .value_kind:     global_buffer
      - .offset:         80
        .size:           4
        .value_kind:     by_value
      - .address_space:  global
        .offset:         88
        .size:           8
        .value_kind:     global_buffer
      - .address_space:  global
        .offset:         96
        .size:           8
        .value_kind:     global_buffer
    .group_segment_fixed_size: 14040
    .kernarg_segment_align: 8
    .kernarg_segment_size: 104
    .language:       OpenCL C
    .language_version:
      - 2
      - 0
    .max_flat_workgroup_size: 195
    .name:           bluestein_single_back_len585_dim1_sp_op_CI_CI
    .private_segment_fixed_size: 0
    .sgpr_count:     16
    .sgpr_spill_count: 0
    .symbol:         bluestein_single_back_len585_dim1_sp_op_CI_CI.kd
    .uniform_work_group_size: 1
    .uses_dynamic_stack: false
    .vgpr_count:     141
    .vgpr_spill_count: 0
    .wavefront_size: 32
    .workgroup_processor_mode: 1
amdhsa.target:   amdgcn-amd-amdhsa--gfx1201
amdhsa.version:
  - 1
  - 2
...

	.end_amdgpu_metadata
